;; amdgpu-corpus repo=ROCm/rocFFT kind=compiled arch=gfx906 opt=O3
	.text
	.amdgcn_target "amdgcn-amd-amdhsa--gfx906"
	.amdhsa_code_object_version 6
	.protected	fft_rtc_back_len1200_factors_5_5_16_3_wgs_225_tpt_75_halfLds_dp_ip_CI_unitstride_sbrr_dirReg ; -- Begin function fft_rtc_back_len1200_factors_5_5_16_3_wgs_225_tpt_75_halfLds_dp_ip_CI_unitstride_sbrr_dirReg
	.globl	fft_rtc_back_len1200_factors_5_5_16_3_wgs_225_tpt_75_halfLds_dp_ip_CI_unitstride_sbrr_dirReg
	.p2align	8
	.type	fft_rtc_back_len1200_factors_5_5_16_3_wgs_225_tpt_75_halfLds_dp_ip_CI_unitstride_sbrr_dirReg,@function
fft_rtc_back_len1200_factors_5_5_16_3_wgs_225_tpt_75_halfLds_dp_ip_CI_unitstride_sbrr_dirReg: ; @fft_rtc_back_len1200_factors_5_5_16_3_wgs_225_tpt_75_halfLds_dp_ip_CI_unitstride_sbrr_dirReg
; %bb.0:
	s_load_dwordx2 s[12:13], s[4:5], 0x50
	s_load_dwordx4 s[8:11], s[4:5], 0x0
	s_load_dwordx2 s[2:3], s[4:5], 0x18
	v_mul_u32_u24_e32 v1, 0x36a, v0
	v_lshrrev_b32_e32 v1, 16, v1
	v_mad_u64_u32 v[1:2], s[0:1], s6, 3, v[1:2]
	v_mov_b32_e32 v5, 0
	s_waitcnt lgkmcnt(0)
	v_cmp_lt_u64_e64 s[0:1], s[10:11], 2
	v_mov_b32_e32 v2, v5
	v_mov_b32_e32 v3, 0
	;; [unrolled: 1-line block ×3, first 2 shown]
	s_and_b64 vcc, exec, s[0:1]
	v_mov_b32_e32 v4, 0
	v_mov_b32_e32 v9, v1
	s_cbranch_vccnz .LBB0_8
; %bb.1:
	s_load_dwordx2 s[0:1], s[4:5], 0x10
	s_add_u32 s6, s2, 8
	s_addc_u32 s7, s3, 0
	v_mov_b32_e32 v3, 0
	v_mov_b32_e32 v8, v2
	s_waitcnt lgkmcnt(0)
	s_add_u32 s16, s0, 8
	s_mov_b64 s[14:15], 1
	v_mov_b32_e32 v4, 0
	s_addc_u32 s17, s1, 0
	v_mov_b32_e32 v7, v1
.LBB0_2:                                ; =>This Inner Loop Header: Depth=1
	s_load_dwordx2 s[18:19], s[16:17], 0x0
                                        ; implicit-def: $vgpr9_vgpr10
	s_waitcnt lgkmcnt(0)
	v_or_b32_e32 v6, s19, v8
	v_cmp_ne_u64_e32 vcc, 0, v[5:6]
	s_and_saveexec_b64 s[0:1], vcc
	s_xor_b64 s[20:21], exec, s[0:1]
	s_cbranch_execz .LBB0_4
; %bb.3:                                ;   in Loop: Header=BB0_2 Depth=1
	v_cvt_f32_u32_e32 v2, s18
	v_cvt_f32_u32_e32 v6, s19
	s_sub_u32 s0, 0, s18
	s_subb_u32 s1, 0, s19
	v_mac_f32_e32 v2, 0x4f800000, v6
	v_rcp_f32_e32 v2, v2
	v_mul_f32_e32 v2, 0x5f7ffffc, v2
	v_mul_f32_e32 v6, 0x2f800000, v2
	v_trunc_f32_e32 v6, v6
	v_mac_f32_e32 v2, 0xcf800000, v6
	v_cvt_u32_f32_e32 v6, v6
	v_cvt_u32_f32_e32 v2, v2
	v_mul_lo_u32 v9, s0, v6
	v_mul_hi_u32 v10, s0, v2
	v_mul_lo_u32 v12, s1, v2
	v_mul_lo_u32 v11, s0, v2
	v_add_u32_e32 v9, v10, v9
	v_add_u32_e32 v9, v9, v12
	v_mul_hi_u32 v10, v2, v11
	v_mul_lo_u32 v12, v2, v9
	v_mul_hi_u32 v14, v2, v9
	v_mul_hi_u32 v13, v6, v11
	v_mul_lo_u32 v11, v6, v11
	v_mul_hi_u32 v15, v6, v9
	v_add_co_u32_e32 v10, vcc, v10, v12
	v_addc_co_u32_e32 v12, vcc, 0, v14, vcc
	v_mul_lo_u32 v9, v6, v9
	v_add_co_u32_e32 v10, vcc, v10, v11
	v_addc_co_u32_e32 v10, vcc, v12, v13, vcc
	v_addc_co_u32_e32 v11, vcc, 0, v15, vcc
	v_add_co_u32_e32 v9, vcc, v10, v9
	v_addc_co_u32_e32 v10, vcc, 0, v11, vcc
	v_add_co_u32_e32 v2, vcc, v2, v9
	v_addc_co_u32_e32 v6, vcc, v6, v10, vcc
	v_mul_lo_u32 v9, s0, v6
	v_mul_hi_u32 v10, s0, v2
	v_mul_lo_u32 v11, s1, v2
	v_mul_lo_u32 v12, s0, v2
	v_add_u32_e32 v9, v10, v9
	v_add_u32_e32 v9, v9, v11
	v_mul_lo_u32 v13, v2, v9
	v_mul_hi_u32 v14, v2, v12
	v_mul_hi_u32 v15, v2, v9
	;; [unrolled: 1-line block ×3, first 2 shown]
	v_mul_lo_u32 v12, v6, v12
	v_mul_hi_u32 v10, v6, v9
	v_add_co_u32_e32 v13, vcc, v14, v13
	v_addc_co_u32_e32 v14, vcc, 0, v15, vcc
	v_mul_lo_u32 v9, v6, v9
	v_add_co_u32_e32 v12, vcc, v13, v12
	v_addc_co_u32_e32 v11, vcc, v14, v11, vcc
	v_addc_co_u32_e32 v10, vcc, 0, v10, vcc
	v_add_co_u32_e32 v9, vcc, v11, v9
	v_addc_co_u32_e32 v10, vcc, 0, v10, vcc
	v_add_co_u32_e32 v2, vcc, v2, v9
	v_addc_co_u32_e32 v6, vcc, v6, v10, vcc
	v_mad_u64_u32 v[9:10], s[0:1], v7, v6, 0
	v_mul_hi_u32 v11, v7, v2
	v_add_co_u32_e32 v13, vcc, v11, v9
	v_addc_co_u32_e32 v14, vcc, 0, v10, vcc
	v_mad_u64_u32 v[9:10], s[0:1], v8, v2, 0
	v_mad_u64_u32 v[11:12], s[0:1], v8, v6, 0
	v_add_co_u32_e32 v2, vcc, v13, v9
	v_addc_co_u32_e32 v2, vcc, v14, v10, vcc
	v_addc_co_u32_e32 v6, vcc, 0, v12, vcc
	v_add_co_u32_e32 v2, vcc, v2, v11
	v_addc_co_u32_e32 v6, vcc, 0, v6, vcc
	v_mul_lo_u32 v11, s19, v2
	v_mul_lo_u32 v12, s18, v6
	v_mad_u64_u32 v[9:10], s[0:1], s18, v2, 0
	v_add3_u32 v10, v10, v12, v11
	v_sub_u32_e32 v11, v8, v10
	v_mov_b32_e32 v12, s19
	v_sub_co_u32_e32 v9, vcc, v7, v9
	v_subb_co_u32_e64 v11, s[0:1], v11, v12, vcc
	v_subrev_co_u32_e64 v12, s[0:1], s18, v9
	v_subbrev_co_u32_e64 v11, s[0:1], 0, v11, s[0:1]
	v_cmp_le_u32_e64 s[0:1], s19, v11
	v_cndmask_b32_e64 v13, 0, -1, s[0:1]
	v_cmp_le_u32_e64 s[0:1], s18, v12
	v_cndmask_b32_e64 v12, 0, -1, s[0:1]
	v_cmp_eq_u32_e64 s[0:1], s19, v11
	v_cndmask_b32_e64 v11, v13, v12, s[0:1]
	v_add_co_u32_e64 v12, s[0:1], 2, v2
	v_addc_co_u32_e64 v13, s[0:1], 0, v6, s[0:1]
	v_add_co_u32_e64 v14, s[0:1], 1, v2
	v_addc_co_u32_e64 v15, s[0:1], 0, v6, s[0:1]
	v_subb_co_u32_e32 v10, vcc, v8, v10, vcc
	v_cmp_ne_u32_e64 s[0:1], 0, v11
	v_cmp_le_u32_e32 vcc, s19, v10
	v_cndmask_b32_e64 v11, v15, v13, s[0:1]
	v_cndmask_b32_e64 v13, 0, -1, vcc
	v_cmp_le_u32_e32 vcc, s18, v9
	v_cndmask_b32_e64 v9, 0, -1, vcc
	v_cmp_eq_u32_e32 vcc, s19, v10
	v_cndmask_b32_e32 v9, v13, v9, vcc
	v_cmp_ne_u32_e32 vcc, 0, v9
	v_cndmask_b32_e32 v10, v6, v11, vcc
	v_cndmask_b32_e64 v6, v14, v12, s[0:1]
	v_cndmask_b32_e32 v9, v2, v6, vcc
.LBB0_4:                                ;   in Loop: Header=BB0_2 Depth=1
	s_andn2_saveexec_b64 s[0:1], s[20:21]
	s_cbranch_execz .LBB0_6
; %bb.5:                                ;   in Loop: Header=BB0_2 Depth=1
	v_cvt_f32_u32_e32 v2, s18
	s_sub_i32 s20, 0, s18
	v_rcp_iflag_f32_e32 v2, v2
	v_mul_f32_e32 v2, 0x4f7ffffe, v2
	v_cvt_u32_f32_e32 v2, v2
	v_mul_lo_u32 v6, s20, v2
	v_mul_hi_u32 v6, v2, v6
	v_add_u32_e32 v2, v2, v6
	v_mul_hi_u32 v2, v7, v2
	v_mul_lo_u32 v6, v2, s18
	v_add_u32_e32 v9, 1, v2
	v_sub_u32_e32 v6, v7, v6
	v_subrev_u32_e32 v10, s18, v6
	v_cmp_le_u32_e32 vcc, s18, v6
	v_cndmask_b32_e32 v6, v6, v10, vcc
	v_cndmask_b32_e32 v2, v2, v9, vcc
	v_add_u32_e32 v9, 1, v2
	v_cmp_le_u32_e32 vcc, s18, v6
	v_cndmask_b32_e32 v9, v2, v9, vcc
	v_mov_b32_e32 v10, v5
.LBB0_6:                                ;   in Loop: Header=BB0_2 Depth=1
	s_or_b64 exec, exec, s[0:1]
	v_mul_lo_u32 v2, v10, s18
	v_mul_lo_u32 v6, v9, s19
	v_mad_u64_u32 v[11:12], s[0:1], v9, s18, 0
	s_load_dwordx2 s[0:1], s[6:7], 0x0
	s_add_u32 s14, s14, 1
	v_add3_u32 v2, v12, v6, v2
	v_sub_co_u32_e32 v6, vcc, v7, v11
	v_subb_co_u32_e32 v2, vcc, v8, v2, vcc
	s_waitcnt lgkmcnt(0)
	v_mul_lo_u32 v2, s0, v2
	v_mul_lo_u32 v7, s1, v6
	v_mad_u64_u32 v[3:4], s[0:1], s0, v6, v[3:4]
	s_addc_u32 s15, s15, 0
	s_add_u32 s6, s6, 8
	v_add3_u32 v4, v7, v4, v2
	v_mov_b32_e32 v6, s10
	v_mov_b32_e32 v7, s11
	s_addc_u32 s7, s7, 0
	v_cmp_ge_u64_e32 vcc, s[14:15], v[6:7]
	s_add_u32 s16, s16, 8
	s_addc_u32 s17, s17, 0
	s_cbranch_vccnz .LBB0_8
; %bb.7:                                ;   in Loop: Header=BB0_2 Depth=1
	v_mov_b32_e32 v7, v9
	v_mov_b32_e32 v8, v10
	s_branch .LBB0_2
.LBB0_8:
	s_lshl_b64 s[0:1], s[10:11], 3
	s_add_u32 s0, s2, s0
	s_addc_u32 s1, s3, s1
	s_load_dwordx2 s[2:3], s[0:1], 0x0
	s_load_dwordx2 s[6:7], s[4:5], 0x20
                                        ; implicit-def: $vgpr82_vgpr83
                                        ; implicit-def: $vgpr42_vgpr43
                                        ; implicit-def: $vgpr78_vgpr79
                                        ; implicit-def: $vgpr86_vgpr87
                                        ; implicit-def: $vgpr70_vgpr71
                                        ; implicit-def: $vgpr22_vgpr23
                                        ; implicit-def: $vgpr34_vgpr35
                                        ; implicit-def: $vgpr38_vgpr39
                                        ; implicit-def: $vgpr14_vgpr15
                                        ; implicit-def: $vgpr18_vgpr19
                                        ; implicit-def: $vgpr66_vgpr67
                                        ; implicit-def: $vgpr54_vgpr55
                                        ; implicit-def: $vgpr62_vgpr63
                                        ; implicit-def: $vgpr26_vgpr27
                                        ; implicit-def: $vgpr30_vgpr31
                                        ; implicit-def: $vgpr74_vgpr75
                                        ; implicit-def: $vgpr46_vgpr47
                                        ; implicit-def: $vgpr90_vgpr91
	s_waitcnt lgkmcnt(0)
	v_mad_u64_u32 v[2:3], s[0:1], s2, v9, v[3:4]
	v_mul_lo_u32 v5, s2, v10
	v_mul_lo_u32 v6, s3, v9
	s_mov_b32 s0, 0x369d037
	v_mul_hi_u32 v4, v0, s0
	v_cmp_gt_u64_e64 s[0:1], s[6:7], v[9:10]
	v_add3_u32 v3, v6, v3, v5
	v_lshlrev_b64 v[118:119], 4, v[2:3]
	v_mul_u32_u24_e32 v4, 0x4b, v4
	v_sub_u32_e32 v116, v0, v4
                                        ; implicit-def: $vgpr6_vgpr7
                                        ; implicit-def: $vgpr10_vgpr11
	s_and_saveexec_b64 s[2:3], s[0:1]
	s_cbranch_execz .LBB0_12
; %bb.9:
	v_mov_b32_e32 v117, 0
	v_mov_b32_e32 v0, s13
	v_add_co_u32_e32 v4, vcc, s12, v118
	v_lshlrev_b64 v[2:3], 4, v[116:117]
	v_addc_co_u32_e32 v0, vcc, v0, v119, vcc
	v_add_co_u32_e32 v2, vcc, v4, v2
	v_addc_co_u32_e32 v3, vcc, v0, v3, vcc
	s_movk_i32 s4, 0x1000
	v_add_co_u32_e32 v24, vcc, s4, v2
	v_addc_co_u32_e32 v25, vcc, 0, v3, vcc
	s_movk_i32 s4, 0x2000
	;; [unrolled: 3-line block ×4, first 2 shown]
	v_add_co_u32_e32 v30, vcc, s4, v2
	global_load_dwordx4 v[40:43], v[24:25], off offset:3584
	global_load_dwordx4 v[20:23], v[26:27], off offset:688
	v_addc_co_u32_e32 v31, vcc, 0, v3, vcc
	global_load_dwordx4 v[44:47], v[24:25], off offset:944
	global_load_dwordx4 v[4:7], v[24:25], off offset:2144
	;; [unrolled: 1-line block ×9, first 2 shown]
	global_load_dwordx4 v[88:91], v[2:3], off
	global_load_dwordx4 v[68:71], v[2:3], off offset:1200
	global_load_dwordx4 v[80:83], v[2:3], off offset:3840
	;; [unrolled: 1-line block ×3, first 2 shown]
	v_cmp_gt_u32_e32 vcc, 15, v116
                                        ; implicit-def: $vgpr28_vgpr29
                                        ; implicit-def: $vgpr24_vgpr25
                                        ; implicit-def: $vgpr60_vgpr61
                                        ; implicit-def: $vgpr52_vgpr53
                                        ; implicit-def: $vgpr64_vgpr65
	s_and_saveexec_b64 s[4:5], vcc
	s_cbranch_execz .LBB0_11
; %bb.10:
	v_add_co_u32_e32 v48, vcc, 0x1000, v2
	v_addc_co_u32_e32 v49, vcc, 0, v3, vcc
	global_load_dwordx4 v[28:31], v[2:3], off offset:3600
	global_load_dwordx4 v[24:27], v[48:49], off offset:3344
	v_add_co_u32_e32 v48, vcc, 0x2000, v2
	v_addc_co_u32_e32 v49, vcc, 0, v3, vcc
	v_add_co_u32_e32 v50, vcc, 0x3000, v2
	v_addc_co_u32_e32 v51, vcc, 0, v3, vcc
	;; [unrolled: 2-line block ×3, first 2 shown]
	global_load_dwordx4 v[60:63], v[48:49], off offset:3088
	global_load_dwordx4 v[52:55], v[50:51], off offset:2832
	;; [unrolled: 1-line block ×3, first 2 shown]
.LBB0_11:
	s_or_b64 exec, exec, s[4:5]
.LBB0_12:
	s_or_b64 exec, exec, s[2:3]
	s_waitcnt vmcnt(10)
	v_add_f64 v[2:3], v[40:41], v[76:77]
	s_waitcnt vmcnt(1)
	v_add_f64 v[50:51], v[82:83], -v[86:87]
	s_mov_b32 s4, 0x134454ff
	s_mov_b32 s5, 0xbfee6f0e
	;; [unrolled: 1-line block ×4, first 2 shown]
	v_add_f64 v[56:57], v[42:43], -v[78:79]
	v_add_f64 v[58:59], v[80:81], -v[40:41]
	v_fma_f64 v[2:3], v[2:3], -0.5, v[88:89]
	v_add_f64 v[92:93], v[84:85], -v[76:77]
	v_add_f64 v[96:97], v[80:81], v[84:85]
	v_add_f64 v[98:99], v[20:21], v[32:33]
	s_mov_b32 s10, 0xaaaaaaab
	v_mul_hi_u32 v0, v1, s10
	s_mov_b32 s6, 0x4755a5e
	s_mov_b32 s7, 0xbfe2cf23
	v_fma_f64 v[94:95], v[50:51], s[4:5], v[2:3]
	v_fma_f64 v[2:3], v[50:51], s[14:15], v[2:3]
	v_lshrrev_b32_e32 v0, 1, v0
	s_mov_b32 s11, 0x3fe2cf23
	s_mov_b32 s10, s6
	v_lshl_add_u32 v0, v0, 1, v0
	v_add_f64 v[48:49], v[80:81], v[88:89]
	v_add_f64 v[100:101], v[72:73], v[44:45]
	;; [unrolled: 1-line block ×3, first 2 shown]
	v_fma_f64 v[92:93], v[56:57], s[6:7], v[94:95]
	v_fma_f64 v[2:3], v[56:57], s[10:11], v[2:3]
	v_fma_f64 v[88:89], v[96:97], -0.5, v[88:89]
	v_sub_u32_e32 v117, v1, v0
	v_fma_f64 v[0:1], v[98:99], -0.5, v[68:69]
	v_add_f64 v[94:95], v[46:47], -v[74:75]
	s_mov_b32 s2, 0x372fe950
	s_mov_b32 s3, 0x3fd3c6ef
	v_fma_f64 v[92:93], v[58:59], s[2:3], v[92:93]
	v_fma_f64 v[96:97], v[58:59], s[2:3], v[2:3]
	v_fma_f64 v[2:3], v[56:57], s[14:15], v[88:89]
	v_add_f64 v[58:59], v[22:23], -v[34:35]
	v_fma_f64 v[98:99], v[100:101], -0.5, v[68:69]
	v_add_f64 v[100:101], v[40:41], -v[80:81]
	v_add_f64 v[102:103], v[76:77], -v[84:85]
	v_fma_f64 v[56:57], v[56:57], s[4:5], v[88:89]
	v_fma_f64 v[88:89], v[94:95], s[4:5], v[0:1]
	v_add_f64 v[104:105], v[44:45], -v[20:21]
	v_add_f64 v[106:107], v[72:73], -v[32:33]
	v_fma_f64 v[0:1], v[94:95], s[14:15], v[0:1]
	v_fma_f64 v[2:3], v[50:51], s[6:7], v[2:3]
	v_fma_f64 v[108:109], v[58:59], s[14:15], v[98:99]
	v_add_f64 v[100:101], v[100:101], v[102:103]
	v_fma_f64 v[50:51], v[50:51], s[10:11], v[56:57]
	v_fma_f64 v[56:57], v[58:59], s[6:7], v[88:89]
	v_add_f64 v[110:111], v[20:21], -v[44:45]
	v_add_f64 v[88:89], v[106:107], v[104:105]
	v_fma_f64 v[0:1], v[58:59], s[10:11], v[0:1]
	v_add_f64 v[106:107], v[12:13], v[8:9]
	v_fma_f64 v[58:59], v[58:59], s[4:5], v[98:99]
	v_fma_f64 v[98:99], v[100:101], s[2:3], v[2:3]
	;; [unrolled: 1-line block ×3, first 2 shown]
	v_add_f64 v[112:113], v[32:33], -v[72:73]
	v_fma_f64 v[102:103], v[94:95], s[6:7], v[108:109]
	v_fma_f64 v[100:101], v[88:89], s[2:3], v[56:57]
	;; [unrolled: 1-line block ×3, first 2 shown]
	s_waitcnt vmcnt(0)
	v_add_f64 v[0:1], v[64:65], v[24:25]
	v_fma_f64 v[2:3], v[106:107], -0.5, v[36:37]
	v_add_f64 v[106:107], v[6:7], -v[18:19]
	v_fma_f64 v[56:57], v[94:95], s[10:11], v[58:59]
	v_add_f64 v[58:59], v[4:5], -v[12:13]
	v_add_f64 v[94:95], v[16:17], -v[8:9]
	v_add_f64 v[108:109], v[62:63], -v[54:55]
	v_add_f64 v[104:105], v[112:113], v[110:111]
	v_fma_f64 v[0:1], v[0:1], -0.5, v[28:29]
	v_add_f64 v[110:111], v[60:61], -v[24:25]
	v_add_f64 v[112:113], v[52:53], -v[64:65]
	v_fma_f64 v[114:115], v[106:107], s[4:5], v[2:3]
	v_add_f64 v[120:121], v[14:15], -v[10:11]
	v_fma_f64 v[2:3], v[106:107], s[14:15], v[2:3]
	v_add_f64 v[58:59], v[58:59], v[94:95]
	v_add_f64 v[94:95], v[26:27], -v[66:67]
	v_fma_f64 v[124:125], v[108:109], s[14:15], v[0:1]
	v_fma_f64 v[0:1], v[108:109], s[4:5], v[0:1]
	v_add_f64 v[122:123], v[4:5], v[16:17]
	v_add_f64 v[110:111], v[112:113], v[110:111]
	v_fma_f64 v[114:115], v[120:121], s[6:7], v[114:115]
	v_fma_f64 v[2:3], v[120:121], s[10:11], v[2:3]
	;; [unrolled: 1-line block ×6, first 2 shown]
	v_fma_f64 v[122:123], v[122:123], -0.5, v[36:37]
	v_add_f64 v[48:49], v[40:41], v[48:49]
	v_fma_f64 v[114:115], v[58:59], s[2:3], v[114:115]
	v_fma_f64 v[124:125], v[58:59], s[2:3], v[2:3]
	v_add_f64 v[68:69], v[68:69], v[44:45]
	v_add_f64 v[126:127], v[12:13], -v[4:5]
	v_add_f64 v[128:129], v[8:9], -v[16:17]
	v_fma_f64 v[58:59], v[110:111], s[2:3], v[0:1]
	v_add_f64 v[0:1], v[52:53], v[60:61]
	v_fma_f64 v[2:3], v[120:121], s[14:15], v[122:123]
	v_fma_f64 v[56:57], v[110:111], s[2:3], v[56:57]
	;; [unrolled: 1-line block ×3, first 2 shown]
	v_add_f64 v[122:123], v[24:25], v[28:29]
	v_add_f64 v[112:113], v[76:77], v[48:49]
	;; [unrolled: 1-line block ×4, first 2 shown]
	v_fma_f64 v[0:1], v[0:1], -0.5, v[28:29]
	v_add_f64 v[28:29], v[36:37], v[4:5]
	v_fma_f64 v[2:3], v[106:107], s[6:7], v[2:3]
	v_fma_f64 v[36:37], v[106:107], s[10:11], v[110:111]
	v_add_f64 v[106:107], v[24:25], -v[60:61]
	v_add_f64 v[110:111], v[64:65], -v[52:53]
	v_add_f64 v[126:127], v[60:61], v[122:123]
	v_add_f64 v[112:113], v[84:85], v[112:113]
	v_fma_f64 v[128:129], v[94:95], s[4:5], v[0:1]
	v_add_f64 v[130:131], v[28:29], v[12:13]
	v_fma_f64 v[0:1], v[94:95], s[14:15], v[0:1]
	v_add_f64 v[68:69], v[32:33], v[68:69]
	v_mul_u32_u24_e32 v48, 0x4b0, v117
	v_add_f64 v[94:95], v[110:111], v[106:107]
	v_add_f64 v[106:107], v[52:53], v[126:127]
	v_mad_u32_u24 v49, v116, 40, 0
	v_fma_f64 v[110:111], v[108:109], s[6:7], v[128:129]
	v_add_f64 v[126:127], v[130:131], v[8:9]
	v_fma_f64 v[108:109], v[108:109], s[10:11], v[0:1]
	v_lshlrev_b32_e32 v123, 3, v48
	v_add_u32_e32 v28, v49, v123
	ds_write2_b64 v28, v[112:113], v[92:93] offset1:1
	v_fma_f64 v[112:113], v[120:121], s[2:3], v[36:37]
	v_add_f64 v[36:37], v[72:73], v[68:69]
	v_fma_f64 v[92:93], v[120:121], s[2:3], v[2:3]
	v_add_f64 v[0:1], v[64:65], v[106:107]
	;; [unrolled: 2-line block ×3, first 2 shown]
	v_fma_f64 v[68:69], v[94:95], s[2:3], v[108:109]
	v_add_u32_e32 v29, 0xbb8, v28
	ds_write2_b64 v28, v[98:99], v[50:51] offset0:2 offset1:3
	ds_write_b64 v28, v[96:97] offset:32
	ds_write2_b64 v29, v[36:37], v[100:101] offset1:1
	v_add_u32_e32 v36, 0xbc8, v28
	v_add_u32_e32 v37, 0x1770, v49
	ds_write2_b64 v36, v[102:103], v[104:105] offset1:1
	ds_write_b64 v28, v[88:89] offset:3032
	v_add_u32_e32 v36, v37, v123
	v_cmp_gt_u32_e32 vcc, 15, v116
	ds_write2_b64 v36, v[106:107], v[114:115] offset1:1
	ds_write2_b64 v36, v[92:93], v[112:113] offset0:2 offset1:3
	ds_write_b64 v36, v[124:125] offset:32
	s_and_saveexec_b64 s[2:3], vcc
	s_cbranch_execz .LBB0_14
; %bb.13:
	v_lshl_add_u32 v37, v48, 3, v37
	v_add_u32_e32 v48, 0xbb8, v37
	ds_write2_b64 v48, v[0:1], v[2:3] offset1:1
	v_add_u32_e32 v48, 0xbc8, v37
	ds_write2_b64 v48, v[56:57], v[58:59] offset1:1
	ds_write_b64 v37, v[68:69] offset:3032
.LBB0_14:
	s_or_b64 exec, exec, s[2:3]
	v_lshlrev_b32_e32 v37, 3, v116
	v_add3_u32 v117, 0, v37, v123
	v_add3_u32 v122, 0, v123, v37
	v_add_u32_e32 v37, 0x400, v117
	s_waitcnt lgkmcnt(0)
	s_barrier
	ds_read2_b64 v[108:111], v37 offset0:112 offset1:187
	v_add_u32_e32 v37, 0x800, v117
	ds_read2_b64 v[92:95], v37 offset0:134 offset1:224
	v_add_u32_e32 v37, 0x1400, v117
	;; [unrolled: 2-line block ×3, first 2 shown]
	ds_read_b64 v[88:89], v122
	ds_read2_b64 v[96:99], v37 offset0:102 offset1:192
	ds_read2_b64 v[48:51], v117 offset0:75 offset1:150
	v_add_u32_e32 v37, 0x1000, v117
	ds_read2_b64 v[104:107], v37 offset0:43 offset1:118
	v_add_u32_e32 v37, 0x2000, v117
	ds_read2_b64 v[100:103], v37 offset0:11 offset1:86
	s_and_saveexec_b64 s[2:3], vcc
	s_cbranch_execz .LBB0_16
; %bb.15:
	v_add_u32_e32 v0, 0x700, v117
	v_add_u32_e32 v37, 0x1600, v117
	ds_read2_b64 v[0:3], v0 offset0:1 offset1:241
	ds_read2_b64 v[56:59], v37 offset0:1 offset1:241
	ds_read_b64 v[68:69], v117 offset:9480
.LBB0_16:
	s_or_b64 exec, exec, s[2:3]
	v_add_f64 v[120:121], v[82:83], v[90:91]
	v_add_f64 v[124:125], v[42:43], v[78:79]
	v_add_f64 v[80:81], v[80:81], -v[84:85]
	v_add_f64 v[40:41], v[40:41], -v[76:77]
	;; [unrolled: 1-line block ×3, first 2 shown]
	s_mov_b32 s2, 0x134454ff
	s_mov_b32 s3, 0x3fee6f0e
	;; [unrolled: 1-line block ×3, first 2 shown]
	v_add_f64 v[76:77], v[42:43], v[120:121]
	v_fma_f64 v[84:85], v[124:125], -0.5, v[90:91]
	v_add_f64 v[120:121], v[82:83], -v[42:43]
	v_add_f64 v[124:125], v[82:83], v[86:87]
	s_mov_b32 s14, s2
	s_mov_b32 s4, 0x4755a5e
	;; [unrolled: 1-line block ×5, first 2 shown]
	v_fma_f64 v[128:129], v[80:81], s[2:3], v[84:85]
	v_add_f64 v[120:121], v[120:121], v[126:127]
	v_fma_f64 v[90:91], v[124:125], -0.5, v[90:91]
	v_fma_f64 v[84:85], v[80:81], s[14:15], v[84:85]
	v_add_f64 v[126:127], v[70:71], v[46:47]
	v_add_f64 v[76:77], v[78:79], v[76:77]
	v_add_f64 v[42:43], v[42:43], -v[82:83]
	v_add_f64 v[78:79], v[78:79], -v[86:87]
	v_fma_f64 v[124:125], v[40:41], s[4:5], v[128:129]
	v_add_f64 v[128:129], v[22:23], v[34:35]
	v_fma_f64 v[130:131], v[40:41], s[14:15], v[90:91]
	v_fma_f64 v[82:83], v[40:41], s[10:11], v[84:85]
	;; [unrolled: 1-line block ×3, first 2 shown]
	v_add_f64 v[84:85], v[22:23], v[126:127]
	v_add_f64 v[76:77], v[86:87], v[76:77]
	v_add_f64 v[44:45], v[44:45], -v[72:73]
	v_add_f64 v[42:43], v[42:43], v[78:79]
	v_fma_f64 v[86:87], v[128:129], -0.5, v[70:71]
	v_fma_f64 v[72:73], v[80:81], s[4:5], v[130:131]
	s_mov_b32 s6, 0x372fe950
	v_fma_f64 v[40:41], v[80:81], s[10:11], v[40:41]
	v_add_f64 v[80:81], v[34:35], v[84:85]
	v_add_f64 v[84:85], v[74:75], v[46:47]
	s_mov_b32 s7, 0x3fd3c6ef
	v_add_f64 v[20:21], v[20:21], -v[32:33]
	v_fma_f64 v[90:91], v[44:45], s[2:3], v[86:87]
	v_fma_f64 v[32:33], v[42:43], s[6:7], v[72:73]
	;; [unrolled: 1-line block ×5, first 2 shown]
	v_fma_f64 v[42:43], v[84:85], -0.5, v[70:71]
	v_add_f64 v[84:85], v[38:39], v[6:7]
	v_add_f64 v[120:121], v[46:47], -v[22:23]
	v_add_f64 v[124:125], v[74:75], -v[34:35]
	v_add_f64 v[70:71], v[74:75], v[80:81]
	v_fma_f64 v[80:81], v[20:21], s[4:5], v[90:91]
	v_fma_f64 v[86:87], v[44:45], s[14:15], v[86:87]
	v_add_f64 v[22:23], v[22:23], -v[46:47]
	v_fma_f64 v[90:91], v[20:21], s[14:15], v[42:43]
	v_add_f64 v[34:35], v[34:35], -v[74:75]
	v_fma_f64 v[42:43], v[20:21], s[2:3], v[42:43]
	v_add_f64 v[46:47], v[84:85], v[14:15]
	v_add_f64 v[72:73], v[14:15], v[10:11]
	v_add_f64 v[4:5], v[4:5], -v[16:17]
	v_add_f64 v[16:17], v[124:125], v[120:121]
	v_fma_f64 v[20:21], v[20:21], s[10:11], v[86:87]
	v_fma_f64 v[90:91], v[44:45], s[4:5], v[90:91]
	v_add_f64 v[22:23], v[34:35], v[22:23]
	v_fma_f64 v[34:35], v[44:45], s[10:11], v[42:43]
	v_add_f64 v[42:43], v[46:47], v[10:11]
	v_fma_f64 v[72:73], v[72:73], -0.5, v[38:39]
	v_add_f64 v[8:9], v[12:13], -v[8:9]
	v_add_f64 v[12:13], v[6:7], -v[14:15]
	v_add_f64 v[86:87], v[6:7], v[18:19]
	v_fma_f64 v[46:47], v[16:17], s[6:7], v[80:81]
	v_fma_f64 v[16:17], v[16:17], s[6:7], v[20:21]
	;; [unrolled: 1-line block ×4, first 2 shown]
	v_add_f64 v[34:35], v[42:43], v[18:19]
	v_add_f64 v[42:43], v[54:55], v[62:63]
	v_add_f64 v[6:7], v[14:15], -v[6:7]
	v_add_f64 v[14:15], v[66:67], v[26:27]
	v_fma_f64 v[74:75], v[4:5], s[2:3], v[72:73]
	v_add_f64 v[84:85], v[18:19], -v[10:11]
	v_fma_f64 v[37:38], v[86:87], -0.5, v[38:39]
	v_fma_f64 v[72:73], v[4:5], s[14:15], v[72:73]
	v_add_f64 v[10:11], v[10:11], -v[18:19]
	v_add_f64 v[18:19], v[26:27], v[30:31]
	v_fma_f64 v[42:43], v[42:43], -0.5, v[30:31]
	v_add_f64 v[24:25], v[24:25], -v[64:65]
	v_add_f64 v[52:53], v[60:61], -v[52:53]
	v_fma_f64 v[14:15], v[14:15], -0.5, v[30:31]
	v_fma_f64 v[44:45], v[8:9], s[4:5], v[74:75]
	v_fma_f64 v[74:75], v[8:9], s[14:15], v[37:38]
	;; [unrolled: 1-line block ×3, first 2 shown]
	v_add_f64 v[6:7], v[6:7], v[10:11]
	v_fma_f64 v[8:9], v[8:9], s[2:3], v[37:38]
	v_add_f64 v[10:11], v[62:63], v[18:19]
	v_fma_f64 v[18:19], v[24:25], s[2:3], v[42:43]
	v_add_f64 v[30:31], v[26:27], -v[62:63]
	v_add_f64 v[37:38], v[66:67], -v[54:55]
	v_fma_f64 v[42:43], v[24:25], s[14:15], v[42:43]
	v_fma_f64 v[60:61], v[52:53], s[14:15], v[14:15]
	v_add_f64 v[26:27], v[62:63], -v[26:27]
	v_add_f64 v[62:63], v[54:55], -v[66:67]
	v_fma_f64 v[14:15], v[52:53], s[2:3], v[14:15]
	v_add_f64 v[12:13], v[12:13], v[84:85]
	v_fma_f64 v[72:73], v[4:5], s[4:5], v[74:75]
	v_fma_f64 v[4:5], v[4:5], s[10:11], v[8:9]
	v_add_f64 v[8:9], v[54:55], v[10:11]
	v_fma_f64 v[10:11], v[52:53], s[4:5], v[18:19]
	v_add_f64 v[18:19], v[37:38], v[30:31]
	v_fma_f64 v[30:31], v[52:53], s[10:11], v[42:43]
	v_fma_f64 v[37:38], v[24:25], s[4:5], v[60:61]
	v_add_f64 v[26:27], v[62:63], v[26:27]
	v_fma_f64 v[14:15], v[24:25], s[10:11], v[14:15]
	v_fma_f64 v[44:45], v[12:13], s[6:7], v[44:45]
	;; [unrolled: 1-line block ×5, first 2 shown]
	v_add_f64 v[4:5], v[66:67], v[8:9]
	v_fma_f64 v[6:7], v[18:19], s[6:7], v[10:11]
	v_fma_f64 v[42:43], v[18:19], s[6:7], v[30:31]
	;; [unrolled: 1-line block ×4, first 2 shown]
	v_add_u32_e32 v120, 0xe1, v116
	s_waitcnt lgkmcnt(0)
	s_barrier
	ds_write2_b64 v28, v[76:77], v[78:79] offset1:1
	ds_write2_b64 v28, v[32:33], v[40:41] offset0:2 offset1:3
	ds_write_b64 v28, v[82:83] offset:32
	ds_write2_b64 v29, v[70:71], v[46:47] offset1:1
	ds_write2_b64 v29, v[20:21], v[22:23] offset0:2 offset1:3
	ds_write_b64 v29, v[16:17] offset:32
	;; [unrolled: 3-line block ×3, first 2 shown]
	s_and_saveexec_b64 s[2:3], vcc
	s_cbranch_execz .LBB0_18
; %bb.17:
	v_mul_u32_u24_e32 v8, 40, v120
	v_add3_u32 v8, 0, v8, v123
	ds_write2_b64 v8, v[4:5], v[6:7] offset1:1
	ds_write2_b64 v8, v[12:13], v[14:15] offset0:2 offset1:3
	ds_write_b64 v8, v[42:43] offset:32
.LBB0_18:
	s_or_b64 exec, exec, s[2:3]
	v_add_u32_e32 v8, 0x400, v117
	s_waitcnt lgkmcnt(0)
	s_barrier
	ds_read2_b64 v[32:35], v8 offset0:112 offset1:187
	v_add_u32_e32 v8, 0x800, v117
	ds_read2_b64 v[16:19], v8 offset0:134 offset1:224
	v_add_u32_e32 v8, 0x1400, v117
	;; [unrolled: 2-line block ×3, first 2 shown]
	v_add_u32_e32 v24, 0x1000, v117
	ds_read_b64 v[40:41], v122
	ds_read2_b64 v[20:23], v8 offset0:102 offset1:192
	ds_read2_b64 v[8:11], v117 offset0:75 offset1:150
	;; [unrolled: 1-line block ×3, first 2 shown]
	v_add_u32_e32 v24, 0x2000, v117
	ds_read2_b64 v[24:27], v24 offset0:11 offset1:86
	s_and_saveexec_b64 s[2:3], vcc
	s_cbranch_execz .LBB0_20
; %bb.19:
	v_add_u32_e32 v4, 0x700, v117
	v_add_u32_e32 v12, 0x1600, v117
	ds_read2_b64 v[4:7], v4 offset0:1 offset1:241
	ds_read2_b64 v[12:15], v12 offset0:1 offset1:241
	ds_read_b64 v[42:43], v117 offset:9480
.LBB0_20:
	s_or_b64 exec, exec, s[2:3]
	s_movk_i32 s18, 0xcd
	v_mul_lo_u16_sdwa v44, v116, s18 dst_sel:DWORD dst_unused:UNUSED_PAD src0_sel:BYTE_0 src1_sel:DWORD
	v_lshrrev_b16_e32 v193, 10, v44
	v_mul_lo_u16_e32 v44, 5, v193
	v_sub_u16_e32 v194, v116, v44
	v_mov_b32_e32 v74, 6
	v_lshlrev_b32_sdwa v70, v74, v194 dst_sel:DWORD dst_unused:UNUSED_PAD src0_sel:DWORD src1_sel:BYTE_0
	global_load_dwordx4 v[44:47], v70, s[8:9] offset:48
	global_load_dwordx4 v[52:55], v70, s[8:9] offset:32
	;; [unrolled: 1-line block ×3, first 2 shown]
	global_load_dwordx4 v[64:67], v70, s[8:9]
	v_add_u32_e32 v124, 0x4b, v116
	v_mul_lo_u16_sdwa v70, v124, s18 dst_sel:DWORD dst_unused:UNUSED_PAD src0_sel:BYTE_0 src1_sel:DWORD
	v_lshrrev_b16_e32 v195, 10, v70
	v_mul_lo_u16_e32 v70, 5, v195
	v_sub_u16_e32 v196, v124, v70
	v_add_u32_e32 v121, 0x96, v116
	v_lshlrev_b32_sdwa v75, v74, v196 dst_sel:DWORD dst_unused:UNUSED_PAD src0_sel:DWORD src1_sel:BYTE_0
	global_load_dwordx4 v[125:128], v75, s[8:9] offset:48
	global_load_dwordx4 v[78:81], v75, s[8:9] offset:32
	;; [unrolled: 1-line block ×3, first 2 shown]
	global_load_dwordx4 v[129:132], v75, s[8:9]
	v_mul_lo_u16_sdwa v75, v121, s18 dst_sel:DWORD dst_unused:UNUSED_PAD src0_sel:BYTE_0 src1_sel:DWORD
	v_lshrrev_b16_e32 v197, 10, v75
	v_mul_lo_u16_e32 v75, 5, v197
	v_sub_u16_e32 v198, v121, v75
	v_lshlrev_b32_sdwa v74, v74, v198 dst_sel:DWORD dst_unused:UNUSED_PAD src0_sel:DWORD src1_sel:BYTE_0
	s_mov_b32 s2, 0xcccd
	global_load_dwordx4 v[133:136], v74, s[8:9] offset:16
	global_load_dwordx4 v[137:140], v74, s[8:9]
	global_load_dwordx4 v[141:144], v74, s[8:9] offset:48
	global_load_dwordx4 v[145:148], v74, s[8:9] offset:32
	v_mul_u32_u24_sdwa v74, v120, s2 dst_sel:DWORD dst_unused:UNUSED_PAD src0_sel:WORD_0 src1_sel:DWORD
	v_lshrrev_b32_e32 v74, 18, v74
	v_mul_lo_u16_e32 v74, 5, v74
	v_sub_u16_e32 v199, v120, v74
	v_lshlrev_b32_e32 v74, 6, v199
	global_load_dwordx4 v[149:152], v74, s[8:9]
	global_load_dwordx4 v[153:156], v74, s[8:9] offset:16
	global_load_dwordx4 v[157:160], v74, s[8:9] offset:32
	;; [unrolled: 1-line block ×3, first 2 shown]
	s_mov_b32 s4, 0x134454ff
	s_mov_b32 s5, 0xbfee6f0e
	;; [unrolled: 1-line block ×10, first 2 shown]
	s_movk_i32 s19, 0xc8
	s_waitcnt vmcnt(0) lgkmcnt(0)
	s_barrier
	v_mul_f64 v[90:91], v[22:23], v[46:47]
	v_mul_f64 v[86:87], v[36:37], v[54:55]
	v_mul_f64 v[76:77], v[18:19], v[62:63]
	v_mul_f64 v[74:75], v[32:33], v[66:67]
	v_mul_f64 v[66:67], v[108:109], v[66:67]
	v_mul_f64 v[46:47], v[98:99], v[46:47]
	v_mul_f64 v[62:63], v[94:95], v[62:63]
	v_mul_f64 v[54:55], v[112:113], v[54:55]
	v_fma_f64 v[90:91], v[98:99], v[44:45], v[90:91]
	v_fma_f64 v[86:87], v[112:113], v[52:53], v[86:87]
	v_fma_f64 v[84:85], v[94:95], v[60:61], v[76:77]
	v_mul_f64 v[165:166], v[34:35], v[131:132]
	v_mul_f64 v[131:132], v[110:111], v[131:132]
	v_fma_f64 v[82:83], v[108:109], v[64:65], v[74:75]
	v_mul_f64 v[171:172], v[38:39], v[80:81]
	v_mul_f64 v[173:174], v[114:115], v[80:81]
	v_mul_f64 v[177:178], v[16:17], v[139:140]
	v_mul_f64 v[139:140], v[92:93], v[139:140]
	v_mul_f64 v[179:180], v[30:31], v[135:136]
	v_mul_f64 v[135:136], v[106:107], v[135:136]
	v_mul_f64 v[183:184], v[26:27], v[143:144]
	v_mul_f64 v[143:144], v[102:103], v[143:144]
	v_mul_f64 v[185:186], v[6:7], v[151:152]
	v_mul_f64 v[151:152], v[2:3], v[151:152]
	v_mul_f64 v[187:188], v[12:13], v[155:156]
	v_mul_f64 v[155:156], v[56:57], v[155:156]
	v_mul_f64 v[189:190], v[14:15], v[159:160]
	v_fma_f64 v[80:81], v[32:33], v[64:65], -v[66:67]
	v_fma_f64 v[66:67], v[22:23], v[44:45], -v[46:47]
	;; [unrolled: 1-line block ×3, first 2 shown]
	v_add_f64 v[32:33], v[88:89], v[82:83]
	v_add_f64 v[34:35], v[84:85], v[86:87]
	v_mul_f64 v[167:168], v[28:29], v[72:73]
	v_mul_f64 v[169:170], v[104:105], v[72:73]
	;; [unrolled: 1-line block ×6, first 2 shown]
	v_fma_f64 v[74:75], v[18:19], v[60:61], -v[62:63]
	v_fma_f64 v[72:73], v[36:37], v[52:53], -v[54:55]
	v_fma_f64 v[54:55], v[92:93], v[137:138], v[177:178]
	v_fma_f64 v[18:19], v[16:17], v[137:138], -v[139:140]
	v_fma_f64 v[22:23], v[30:31], v[133:134], -v[135:136]
	;; [unrolled: 1-line block ×4, first 2 shown]
	v_fma_f64 v[6:7], v[56:57], v[153:154], v[187:188]
	v_add_f64 v[26:27], v[80:81], -v[66:67]
	v_add_f64 v[36:37], v[32:33], v[84:85]
	v_fma_f64 v[56:57], v[34:35], -0.5, v[88:89]
	v_fma_f64 v[32:33], v[12:13], v[153:154], -v[155:156]
	v_fma_f64 v[12:13], v[58:59], v[157:158], v[189:190]
	v_add_f64 v[58:59], v[82:83], -v[84:85]
	v_add_f64 v[60:61], v[90:91], -v[86:87]
	v_add_f64 v[92:93], v[82:83], v[90:91]
	v_mul_f64 v[175:176], v[24:25], v[127:128]
	v_mul_f64 v[127:128], v[100:101], v[127:128]
	;; [unrolled: 1-line block ×3, first 2 shown]
	v_fma_f64 v[76:77], v[110:111], v[129:130], v[165:166]
	v_fma_f64 v[64:65], v[104:105], v[70:71], v[167:168]
	v_fma_f64 v[46:47], v[28:29], v[70:71], -v[169:170]
	v_fma_f64 v[70:71], v[114:115], v[78:79], v[171:172]
	v_fma_f64 v[28:29], v[96:97], v[145:146], v[181:182]
	v_add_f64 v[94:95], v[74:75], -v[72:73]
	v_add_f64 v[96:97], v[36:37], v[86:87]
	v_fma_f64 v[98:99], v[26:27], s[4:5], v[56:57]
	v_fma_f64 v[34:35], v[42:43], v[161:162], -v[163:164]
	v_add_f64 v[42:43], v[58:59], v[60:61]
	v_fma_f64 v[58:59], v[92:93], -0.5, v[88:89]
	v_fma_f64 v[56:57], v[26:27], s[2:3], v[56:57]
	v_fma_f64 v[52:53], v[38:39], v[78:79], -v[173:174]
	v_fma_f64 v[78:79], v[100:101], v[125:126], v[175:176]
	v_fma_f64 v[38:39], v[24:25], v[125:126], -v[127:128]
	v_fma_f64 v[36:37], v[14:15], v[157:158], -v[159:160]
	v_fma_f64 v[14:15], v[68:69], v[161:162], v[191:192]
	v_add_f64 v[92:93], v[96:97], v[90:91]
	v_fma_f64 v[60:61], v[94:95], s[6:7], v[98:99]
	v_add_f64 v[68:69], v[64:65], v[70:71]
	v_fma_f64 v[56:57], v[94:95], s[14:15], v[56:57]
	v_fma_f64 v[88:89], v[94:95], s[2:3], v[58:59]
	v_add_f64 v[96:97], v[84:85], -v[82:83]
	v_add_f64 v[98:99], v[86:87], -v[90:91]
	v_fma_f64 v[58:59], v[94:95], s[4:5], v[58:59]
	v_add_f64 v[94:95], v[48:49], v[76:77]
	v_fma_f64 v[24:25], v[106:107], v[133:134], v[179:180]
	v_fma_f64 v[62:63], v[102:103], v[141:142], v[183:184]
	v_fma_f64 v[68:69], v[68:69], -0.5, v[48:49]
	v_add_f64 v[100:101], v[44:45], -v[38:39]
	v_fma_f64 v[102:103], v[42:43], s[10:11], v[60:61]
	v_fma_f64 v[104:105], v[42:43], s[10:11], v[56:57]
	;; [unrolled: 1-line block ×3, first 2 shown]
	v_add_f64 v[56:57], v[96:97], v[98:99]
	v_add_f64 v[60:61], v[76:77], v[78:79]
	v_fma_f64 v[26:27], v[26:27], s[14:15], v[58:59]
	v_add_f64 v[58:59], v[94:95], v[64:65]
	v_add_f64 v[96:97], v[76:77], -v[64:65]
	v_add_f64 v[98:99], v[78:79], -v[70:71]
	v_fma_f64 v[88:89], v[100:101], s[4:5], v[68:69]
	v_add_f64 v[94:95], v[46:47], -v[52:53]
	v_fma_f64 v[68:69], v[100:101], s[2:3], v[68:69]
	v_fma_f64 v[48:49], v[60:61], -0.5, v[48:49]
	v_fma_f64 v[106:107], v[56:57], s[10:11], v[42:43]
	v_fma_f64 v[108:109], v[56:57], s[10:11], v[26:27]
	v_add_f64 v[26:27], v[58:59], v[70:71]
	v_add_f64 v[42:43], v[24:25], v[28:29]
	;; [unrolled: 1-line block ×4, first 2 shown]
	v_fma_f64 v[2:3], v[2:3], v[149:150], v[185:186]
	v_fma_f64 v[56:57], v[94:95], s[6:7], v[88:89]
	;; [unrolled: 1-line block ×4, first 2 shown]
	v_add_f64 v[88:89], v[64:65], -v[76:77]
	v_add_f64 v[96:97], v[70:71], -v[78:79]
	v_fma_f64 v[110:111], v[42:43], -0.5, v[50:51]
	v_fma_f64 v[42:43], v[94:95], s[4:5], v[48:49]
	v_add_f64 v[48:49], v[98:99], v[24:25]
	v_fma_f64 v[20:21], v[20:21], v[145:146], -v[147:148]
	v_add_f64 v[112:113], v[18:19], -v[16:17]
	v_add_f64 v[114:115], v[26:27], v[78:79]
	v_fma_f64 v[125:126], v[58:59], s[10:11], v[56:57]
	v_fma_f64 v[127:128], v[58:59], s[10:11], v[60:61]
	;; [unrolled: 1-line block ×3, first 2 shown]
	v_add_f64 v[58:59], v[88:89], v[96:97]
	v_add_f64 v[68:69], v[54:55], v[62:63]
	;; [unrolled: 1-line block ×5, first 2 shown]
	v_fma_f64 v[56:57], v[112:113], s[4:5], v[110:111]
	v_add_f64 v[60:61], v[22:23], -v[20:21]
	v_add_f64 v[88:89], v[54:55], -v[24:25]
	;; [unrolled: 1-line block ×3, first 2 shown]
	v_fma_f64 v[98:99], v[58:59], s[10:11], v[26:27]
	v_fma_f64 v[100:101], v[100:101], s[14:15], v[42:43]
	v_fma_f64 v[68:69], v[68:69], -0.5, v[50:51]
	v_fma_f64 v[26:27], v[96:97], -0.5, v[0:1]
	v_add_f64 v[42:43], v[30:31], -v[34:35]
	v_add_f64 v[50:51], v[32:33], -v[36:37]
	v_fma_f64 v[48:49], v[48:49], -0.5, v[0:1]
	v_fma_f64 v[131:132], v[60:61], s[6:7], v[56:57]
	v_add_f64 v[88:89], v[88:89], v[94:95]
	v_fma_f64 v[56:57], v[112:113], s[2:3], v[110:111]
	v_fma_f64 v[94:95], v[60:61], s[2:3], v[68:69]
	v_add_f64 v[96:97], v[24:25], -v[54:55]
	v_add_f64 v[110:111], v[28:29], -v[62:63]
	v_fma_f64 v[68:69], v[60:61], s[4:5], v[68:69]
	v_fma_f64 v[133:134], v[42:43], s[4:5], v[26:27]
	v_add_f64 v[135:136], v[2:3], -v[6:7]
	v_add_f64 v[137:138], v[14:15], -v[12:13]
	v_fma_f64 v[139:140], v[50:51], s[2:3], v[48:49]
	v_add_f64 v[141:142], v[6:7], -v[2:3]
	v_add_f64 v[143:144], v[12:13], -v[14:15]
	v_fma_f64 v[60:61], v[60:61], s[14:15], v[56:57]
	v_fma_f64 v[94:95], v[112:113], s[6:7], v[94:95]
	v_add_f64 v[96:97], v[96:97], v[110:111]
	v_fma_f64 v[110:111], v[112:113], s[14:15], v[68:69]
	v_fma_f64 v[112:113], v[50:51], s[6:7], v[133:134]
	v_add_f64 v[56:57], v[135:136], v[137:138]
	v_fma_f64 v[133:134], v[42:43], s[6:7], v[139:140]
	v_add_f64 v[68:69], v[141:142], v[143:144]
	;; [unrolled: 2-line block ×3, first 2 shown]
	v_fma_f64 v[131:132], v[88:89], s[10:11], v[131:132]
	v_fma_f64 v[135:136], v[88:89], s[10:11], v[60:61]
	;; [unrolled: 1-line block ×6, first 2 shown]
	v_mov_b32_e32 v110, 3
	v_mad_u32_u24 v88, v193, s19, 0
	v_lshlrev_b32_sdwa v89, v110, v194 dst_sel:DWORD dst_unused:UNUSED_PAD src0_sel:DWORD src1_sel:BYTE_0
	v_add3_u32 v89, v88, v89, v123
	ds_write2_b64 v89, v[92:93], v[102:103] offset1:5
	ds_write2_b64 v89, v[106:107], v[108:109] offset0:10 offset1:15
	ds_write_b64 v89, v[104:105] offset:160
	v_mad_u32_u24 v88, v195, s19, 0
	v_lshlrev_b32_sdwa v92, v110, v196 dst_sel:DWORD dst_unused:UNUSED_PAD src0_sel:DWORD src1_sel:BYTE_0
	v_add3_u32 v92, v88, v92, v123
	v_mad_u32_u24 v88, v197, s19, 0
	v_lshlrev_b32_sdwa v93, v110, v198 dst_sel:DWORD dst_unused:UNUSED_PAD src0_sel:DWORD src1_sel:BYTE_0
	v_add3_u32 v93, v88, v93, v123
	v_lshlrev_b32_e32 v88, 3, v199
	ds_write2_b64 v92, v[114:115], v[125:126] offset1:5
	ds_write2_b64 v92, v[98:99], v[100:101] offset0:10 offset1:15
	ds_write_b64 v92, v[127:128] offset:160
	ds_write2_b64 v93, v[129:130], v[131:132] offset1:5
	ds_write2_b64 v93, v[94:95], v[96:97] offset0:10 offset1:15
	ds_write_b64 v93, v[135:136] offset:160
	s_and_saveexec_b64 s[16:17], vcc
	s_cbranch_execz .LBB0_22
; %bb.21:
	v_add_f64 v[0:1], v[0:1], v[2:3]
	v_mul_f64 v[94:95], v[50:51], s[2:3]
	v_mul_f64 v[96:97], v[42:43], s[2:3]
	;; [unrolled: 1-line block ×6, first 2 shown]
	v_add_f64 v[0:1], v[0:1], v[6:7]
	v_add_f64 v[48:49], v[48:49], -v[94:95]
	v_add_f64 v[26:27], v[26:27], v[96:97]
	v_add_f64 v[0:1], v[0:1], v[12:13]
	;; [unrolled: 1-line block ×4, first 2 shown]
	v_mul_lo_u16_sdwa v48, v120, s18 dst_sel:DWORD dst_unused:UNUSED_PAD src0_sel:BYTE_0 src1_sel:DWORD
	v_lshrrev_b16_e32 v48, 10, v48
	v_mad_u32_u24 v48, v48, s19, 0
	v_add3_u32 v48, v48, v88, v123
	v_add_f64 v[0:1], v[0:1], v[14:15]
	v_add_f64 v[42:43], v[68:69], v[42:43]
	v_add_f64 v[26:27], v[56:57], v[26:27]
	ds_write2_b64 v48, v[0:1], v[58:59] offset1:5
	ds_write2_b64 v48, v[60:61], v[42:43] offset0:10 offset1:15
	ds_write_b64 v48, v[26:27] offset:160
.LBB0_22:
	s_or_b64 exec, exec, s[16:17]
	v_add_f64 v[0:1], v[74:75], v[72:73]
	v_add_f64 v[26:27], v[40:41], v[80:81]
	v_add_f64 v[42:43], v[82:83], -v[90:91]
	v_add_f64 v[56:57], v[80:81], v[66:67]
	v_add_f64 v[48:49], v[84:85], -v[86:87]
	v_add_f64 v[50:51], v[80:81], -v[74:75]
	v_add_f64 v[68:69], v[66:67], -v[72:73]
	v_add_f64 v[80:81], v[74:75], -v[80:81]
	v_fma_f64 v[0:1], v[0:1], -0.5, v[40:41]
	v_add_f64 v[86:87], v[46:47], v[52:53]
	v_add_f64 v[26:27], v[26:27], v[74:75]
	v_fma_f64 v[40:41], v[56:57], -0.5, v[40:41]
	v_add_f64 v[82:83], v[72:73], -v[66:67]
	v_add_f64 v[84:85], v[8:9], v[44:45]
	v_add_f64 v[56:57], v[76:77], -v[78:79]
	v_add_f64 v[76:77], v[44:45], v[38:39]
	v_fma_f64 v[74:75], v[42:43], s[2:3], v[0:1]
	v_fma_f64 v[0:1], v[42:43], s[4:5], v[0:1]
	v_add_f64 v[50:51], v[50:51], v[68:69]
	v_fma_f64 v[68:69], v[86:87], -0.5, v[8:9]
	v_add_f64 v[26:27], v[26:27], v[72:73]
	v_fma_f64 v[72:73], v[48:49], s[4:5], v[40:41]
	v_fma_f64 v[40:41], v[48:49], s[2:3], v[40:41]
	v_add_f64 v[78:79], v[84:85], v[46:47]
	v_fma_f64 v[74:75], v[48:49], s[14:15], v[74:75]
	v_fma_f64 v[0:1], v[48:49], s[6:7], v[0:1]
	v_add_f64 v[48:49], v[80:81], v[82:83]
	v_fma_f64 v[8:9], v[76:77], -0.5, v[8:9]
	v_add_f64 v[66:67], v[26:27], v[66:67]
	v_fma_f64 v[26:27], v[42:43], s[14:15], v[72:73]
	v_fma_f64 v[40:41], v[42:43], s[6:7], v[40:41]
	v_add_f64 v[42:43], v[44:45], -v[46:47]
	v_fma_f64 v[72:73], v[50:51], s[10:11], v[74:75]
	v_fma_f64 v[74:75], v[50:51], s[10:11], v[0:1]
	v_add_f64 v[0:1], v[64:65], -v[70:71]
	v_add_f64 v[50:51], v[38:39], -v[52:53]
	v_fma_f64 v[64:65], v[56:57], s[4:5], v[68:69]
	v_fma_f64 v[80:81], v[56:57], s[2:3], v[68:69]
	;; [unrolled: 1-line block ×4, first 2 shown]
	v_add_f64 v[26:27], v[78:79], v[52:53]
	v_add_f64 v[40:41], v[22:23], v[20:21]
	v_add_f64 v[44:45], v[46:47], -v[44:45]
	v_add_f64 v[42:43], v[42:43], v[50:51]
	v_fma_f64 v[50:51], v[0:1], s[6:7], v[64:65]
	v_fma_f64 v[64:65], v[0:1], s[4:5], v[8:9]
	v_add_f64 v[46:47], v[52:53], -v[38:39]
	v_fma_f64 v[48:49], v[0:1], s[14:15], v[80:81]
	v_add_f64 v[54:55], v[54:55], -v[62:63]
	v_fma_f64 v[76:77], v[40:41], -0.5, v[10:11]
	v_add_f64 v[78:79], v[26:27], v[38:39]
	v_add_f64 v[52:53], v[10:11], v[18:19]
	v_fma_f64 v[82:83], v[42:43], s[10:11], v[50:51]
	v_fma_f64 v[26:27], v[56:57], s[14:15], v[64:65]
	v_add_f64 v[38:39], v[44:45], v[46:47]
	v_fma_f64 v[80:81], v[42:43], s[10:11], v[48:49]
	v_add_f64 v[24:25], v[24:25], -v[28:29]
	v_fma_f64 v[40:41], v[54:55], s[2:3], v[76:77]
	v_add_f64 v[28:29], v[18:19], v[16:17]
	v_add_f64 v[42:43], v[18:19], -v[22:23]
	v_add_f64 v[44:45], v[16:17], -v[20:21]
	v_add_f64 v[46:47], v[32:33], v[36:37]
	v_fma_f64 v[84:85], v[38:39], s[10:11], v[26:27]
	v_add_f64 v[26:27], v[30:31], v[34:35]
	v_fma_f64 v[0:1], v[0:1], s[2:3], v[8:9]
	v_add_f64 v[8:9], v[52:53], v[22:23]
	v_fma_f64 v[10:11], v[28:29], -0.5, v[10:11]
	v_fma_f64 v[28:29], v[24:25], s[14:15], v[40:41]
	v_add_f64 v[42:43], v[42:43], v[44:45]
	v_fma_f64 v[40:41], v[46:47], -0.5, v[4:5]
	v_add_f64 v[46:47], v[2:3], -v[14:15]
	v_add_f64 v[48:49], v[6:7], -v[12:13]
	v_fma_f64 v[44:45], v[26:27], -0.5, v[4:5]
	v_fma_f64 v[0:1], v[56:57], s[6:7], v[0:1]
	v_add_f64 v[8:9], v[8:9], v[20:21]
	v_add_f64 v[12:13], v[22:23], -v[18:19]
	v_add_f64 v[14:15], v[20:21], -v[16:17]
	;; [unrolled: 1-line block ×3, first 2 shown]
	v_fma_f64 v[18:19], v[46:47], s[2:3], v[40:41]
	v_add_f64 v[22:23], v[34:35], -v[36:37]
	v_fma_f64 v[26:27], v[48:49], s[4:5], v[44:45]
	v_add_f64 v[52:53], v[32:33], -v[30:31]
	v_add_f64 v[56:57], v[36:37], -v[34:35]
	v_fma_f64 v[2:3], v[54:55], s[4:5], v[76:77]
	v_fma_f64 v[6:7], v[24:25], s[4:5], v[10:11]
	;; [unrolled: 1-line block ×3, first 2 shown]
	v_add_f64 v[12:13], v[12:13], v[14:15]
	v_fma_f64 v[14:15], v[48:49], s[14:15], v[18:19]
	v_add_f64 v[50:51], v[20:21], v[22:23]
	v_fma_f64 v[18:19], v[46:47], s[14:15], v[26:27]
	;; [unrolled: 2-line block ×3, first 2 shown]
	v_fma_f64 v[6:7], v[54:55], s[14:15], v[6:7]
	v_fma_f64 v[10:11], v[54:55], s[6:7], v[10:11]
	v_add_u32_e32 v100, 0x400, v117
	v_add_u32_e32 v102, 0x800, v117
	v_fma_f64 v[62:63], v[50:51], s[10:11], v[14:15]
	v_add_u32_e32 v101, 0x1000, v117
	v_fma_f64 v[64:65], v[52:53], s[10:11], v[18:19]
	v_add_u32_e32 v103, 0x1800, v117
	v_add_u32_e32 v54, 0x1c00, v117
	v_fma_f64 v[55:56], v[38:39], s[10:11], v[0:1]
	v_add_f64 v[76:77], v[8:9], v[16:17]
	v_fma_f64 v[86:87], v[42:43], s[10:11], v[28:29]
	v_fma_f64 v[90:91], v[42:43], s[10:11], v[2:3]
	;; [unrolled: 1-line block ×4, first 2 shown]
	s_waitcnt lgkmcnt(0)
	s_barrier
	ds_read2_b64 v[26:29], v117 offset0:75 offset1:150
	ds_read2_b64 v[22:25], v100 offset0:97 offset1:172
	;; [unrolled: 1-line block ×7, first 2 shown]
	ds_read_b64 v[38:39], v122
	ds_read_b64 v[42:43], v117 offset:9000
	s_waitcnt lgkmcnt(0)
	s_barrier
	ds_write2_b64 v89, v[66:67], v[72:73] offset1:5
	ds_write2_b64 v89, v[68:69], v[70:71] offset0:10 offset1:15
	ds_write_b64 v89, v[74:75] offset:160
	ds_write2_b64 v92, v[78:79], v[80:81] offset1:5
	ds_write2_b64 v92, v[84:85], v[55:56] offset0:10 offset1:15
	ds_write_b64 v92, v[82:83] offset:160
	ds_write2_b64 v93, v[76:77], v[86:87] offset1:5
	ds_write2_b64 v93, v[94:95], v[96:97] offset0:10 offset1:15
	ds_write_b64 v93, v[90:91] offset:160
	s_and_saveexec_b64 s[4:5], vcc
	s_cbranch_execz .LBB0_24
; %bb.23:
	v_add_f64 v[4:5], v[4:5], v[30:31]
	v_mul_f64 v[30:31], v[48:49], s[2:3]
	v_mul_f64 v[55:56], v[46:47], s[2:3]
	;; [unrolled: 1-line block ×4, first 2 shown]
	s_movk_i32 s2, 0xcd
	s_movk_i32 s3, 0xc8
	v_add_f64 v[4:5], v[4:5], v[32:33]
	v_add_f64 v[30:31], v[30:31], v[44:45]
	v_add_f64 v[32:33], v[40:41], -v[55:56]
	v_mul_f64 v[44:45], v[52:53], s[10:11]
	v_mul_f64 v[40:41], v[50:51], s[10:11]
	v_add_f64 v[4:5], v[4:5], v[36:37]
	v_add_f64 v[30:31], v[30:31], -v[46:47]
	v_add_f64 v[32:33], v[32:33], -v[48:49]
	v_add_f64 v[4:5], v[4:5], v[34:35]
	v_add_f64 v[30:31], v[44:45], v[30:31]
	;; [unrolled: 1-line block ×3, first 2 shown]
	v_mul_lo_u16_sdwa v34, v120, s2 dst_sel:DWORD dst_unused:UNUSED_PAD src0_sel:BYTE_0 src1_sel:DWORD
	v_lshrrev_b16_e32 v34, 10, v34
	v_mad_u32_u24 v34, v34, s3, 0
	v_add3_u32 v34, v34, v88, v123
	ds_write2_b64 v34, v[4:5], v[62:63] offset1:5
	ds_write2_b64 v34, v[64:65], v[30:31] offset0:10 offset1:15
	ds_write_b64 v34, v[32:33] offset:160
.LBB0_24:
	s_or_b64 exec, exec, s[4:5]
	v_mov_b32_e32 v4, 41
	v_mul_lo_u16_sdwa v4, v116, v4 dst_sel:DWORD dst_unused:UNUSED_PAD src0_sel:BYTE_0 src1_sel:DWORD
	v_lshrrev_b16_e32 v175, 10, v4
	v_mul_lo_u16_e32 v4, 25, v175
	v_sub_u16_e32 v176, v116, v4
	v_mov_b32_e32 v4, 15
	v_mul_u32_u24_sdwa v4, v176, v4 dst_sel:DWORD dst_unused:UNUSED_PAD src0_sel:BYTE_0 src1_sel:DWORD
	v_lshlrev_b32_e32 v4, 4, v4
	s_waitcnt lgkmcnt(0)
	s_barrier
	global_load_dwordx4 v[44:47], v4, s[8:9] offset:320
	global_load_dwordx4 v[48:51], v4, s[8:9] offset:336
	;; [unrolled: 1-line block ×15, first 2 shown]
	ds_read2_b64 v[129:132], v117 offset0:75 offset1:150
	ds_read2_b64 v[133:136], v100 offset0:97 offset1:172
	;; [unrolled: 1-line block ×7, first 2 shown]
	ds_read_b64 v[40:41], v122
	ds_read_b64 v[4:5], v117 offset:9000
	s_mov_b32 s2, 0x667f3bcd
	s_mov_b32 s3, 0x3fe6a09e
	;; [unrolled: 1-line block ×10, first 2 shown]
	s_waitcnt vmcnt(0) lgkmcnt(0)
	s_barrier
	v_mul_f64 v[56:57], v[129:130], v[46:47]
	v_mul_f64 v[46:47], v[26:27], v[46:47]
	;; [unrolled: 1-line block ×25, first 2 shown]
	v_fma_f64 v[26:27], v[26:27], v[44:45], v[56:57]
	v_fma_f64 v[56:57], v[129:130], v[44:45], -v[46:47]
	v_fma_f64 v[28:29], v[28:29], v[48:49], v[98:99]
	v_fma_f64 v[46:47], v[131:132], v[48:49], -v[50:51]
	v_fma_f64 v[48:49], v[133:134], v[66:67], -v[68:69]
	v_fma_f64 v[24:25], v[24:25], v[70:71], v[151:152]
	v_fma_f64 v[20:21], v[20:21], v[78:79], v[155:156]
	v_fma_f64 v[68:69], v[34:35], v[82:83], -v[84:85]
	v_fma_f64 v[34:35], v[8:9], v[30:31], v[159:160]
	v_fma_f64 v[16:17], v[16:17], v[90:91], v[163:164]
	;; [unrolled: 1-line block ×4, first 2 shown]
	v_mul_f64 v[165:166], v[145:146], v[96:97]
	v_mul_f64 v[96:97], v[10:11], v[96:97]
	;; [unrolled: 1-line block ×4, first 2 shown]
	v_fma_f64 v[22:23], v[22:23], v[66:67], v[149:150]
	v_fma_f64 v[44:45], v[135:136], v[70:71], -v[72:73]
	v_fma_f64 v[50:51], v[137:138], v[74:75], -v[76:77]
	;; [unrolled: 1-line block ×8, first 2 shown]
	v_add_f64 v[80:81], v[38:39], -v[34:35]
	v_add_f64 v[34:35], v[24:25], -v[12:13]
	;; [unrolled: 1-line block ×4, first 2 shown]
	v_fma_f64 v[18:19], v[18:19], v[74:75], v[153:154]
	v_fma_f64 v[6:7], v[6:7], v[82:83], v[157:158]
	;; [unrolled: 1-line block ×4, first 2 shown]
	v_fma_f64 v[74:75], v[145:146], v[94:95], -v[96:97]
	v_fma_f64 v[0:1], v[0:1], v[108:109], v[169:170]
	v_fma_f64 v[78:79], v[42:43], v[125:126], v[173:174]
	v_fma_f64 v[4:5], v[4:5], v[125:126], -v[127:128]
	v_add_f64 v[42:43], v[44:45], -v[76:77]
	v_add_f64 v[16:17], v[46:47], -v[72:73]
	;; [unrolled: 1-line block ×5, first 2 shown]
	v_fma_f64 v[28:29], v[28:29], 2.0, -v[12:13]
	v_fma_f64 v[20:21], v[20:21], 2.0, -v[2:3]
	v_add_f64 v[14:15], v[26:27], -v[14:15]
	v_add_f64 v[0:1], v[18:19], -v[0:1]
	;; [unrolled: 1-line block ×4, first 2 shown]
	v_fma_f64 v[74:75], v[38:39], 2.0, -v[80:81]
	v_fma_f64 v[24:25], v[24:25], 2.0, -v[34:35]
	;; [unrolled: 1-line block ×4, first 2 shown]
	v_add_f64 v[76:77], v[6:7], -v[78:79]
	v_fma_f64 v[78:79], v[56:57], 2.0, -v[70:71]
	v_add_f64 v[4:5], v[68:69], -v[4:5]
	v_fma_f64 v[50:51], v[50:51], 2.0, -v[52:53]
	v_add_f64 v[82:83], v[80:81], v[42:43]
	v_add_f64 v[38:39], v[28:29], -v[20:21]
	v_add_f64 v[20:21], v[12:13], v[54:55]
	v_fma_f64 v[26:27], v[26:27], 2.0, -v[14:15]
	v_fma_f64 v[18:19], v[18:19], 2.0, -v[0:1]
	;; [unrolled: 1-line block ×5, first 2 shown]
	v_add_f64 v[24:25], v[74:75], -v[24:25]
	v_fma_f64 v[84:85], v[68:69], 2.0, -v[4:5]
	v_add_f64 v[2:3], v[16:17], -v[2:3]
	v_add_f64 v[90:91], v[78:79], -v[50:51]
	v_fma_f64 v[54:55], v[80:81], 2.0, -v[82:83]
	v_add_f64 v[56:57], v[46:47], -v[66:67]
	v_fma_f64 v[12:13], v[12:13], 2.0, -v[20:21]
	v_add_f64 v[66:67], v[14:15], v[52:53]
	v_add_f64 v[4:5], v[10:11], v[4:5]
	v_add_f64 v[18:19], v[26:27], -v[18:19]
	v_fma_f64 v[50:51], v[74:75], 2.0, -v[24:25]
	v_fma_f64 v[28:29], v[28:29], 2.0, -v[38:39]
	;; [unrolled: 1-line block ×4, first 2 shown]
	v_add_f64 v[0:1], v[70:71], -v[0:1]
	v_add_f64 v[6:7], v[22:23], -v[6:7]
	;; [unrolled: 1-line block ×4, first 2 shown]
	v_fma_f64 v[52:53], v[12:13], s[10:11], v[54:55]
	v_fma_f64 v[14:15], v[14:15], 2.0, -v[66:67]
	v_fma_f64 v[10:11], v[10:11], 2.0, -v[4:5]
	;; [unrolled: 1-line block ×4, first 2 shown]
	v_add_f64 v[28:29], v[50:51], -v[28:29]
	v_fma_f64 v[22:23], v[22:23], 2.0, -v[6:7]
	v_fma_f64 v[72:73], v[72:73], 2.0, -v[78:79]
	;; [unrolled: 1-line block ×3, first 2 shown]
	v_fma_f64 v[96:97], v[16:17], s[2:3], v[52:53]
	v_fma_f64 v[48:49], v[20:21], s[2:3], v[82:83]
	;; [unrolled: 1-line block ×3, first 2 shown]
	v_mul_f64 v[76:77], v[12:13], s[2:3]
	v_fma_f64 v[94:95], v[50:51], 2.0, -v[28:29]
	v_add_f64 v[50:51], v[26:27], -v[22:23]
	v_fma_f64 v[12:13], v[72:73], s[10:11], v[70:71]
	v_mul_f64 v[88:89], v[2:3], s[2:3]
	v_add_f64 v[104:105], v[24:25], v[56:57]
	v_fma_f64 v[106:107], v[2:3], s[2:3], v[48:49]
	v_fma_f64 v[48:49], v[72:73], s[2:3], v[52:53]
	;; [unrolled: 1-line block ×3, first 2 shown]
	v_mul_f64 v[86:87], v[16:17], s[2:3]
	v_fma_f64 v[16:17], v[54:55], 2.0, -v[96:97]
	v_mul_f64 v[80:81], v[20:21], s[2:3]
	v_fma_f64 v[52:53], v[10:11], s[10:11], v[12:13]
	v_fma_f64 v[12:13], v[26:27], 2.0, -v[50:51]
	v_add_f64 v[20:21], v[18:19], v[74:75]
	v_fma_f64 v[54:55], v[14:15], 2.0, -v[48:49]
	v_fma_f64 v[14:15], v[78:79], s[2:3], v[0:1]
	v_fma_f64 v[74:75], v[78:79], s[2:3], v[2:3]
	v_fma_f64 v[24:25], v[24:25], 2.0, -v[104:105]
	v_fma_f64 v[10:11], v[82:83], 2.0, -v[106:107]
	v_add_f64 v[6:7], v[90:91], -v[6:7]
	v_fma_f64 v[72:73], v[70:71], 2.0, -v[52:53]
	v_add_f64 v[92:93], v[68:69], -v[84:85]
	v_fma_f64 v[2:3], v[54:55], s[4:5], v[16:17]
	v_fma_f64 v[82:83], v[4:5], s[10:11], v[14:15]
	v_add_f64 v[4:5], v[94:95], -v[12:13]
	v_fma_f64 v[12:13], v[18:19], 2.0, -v[20:21]
	v_fma_f64 v[78:79], v[66:67], 2.0, -v[74:75]
	;; [unrolled: 1-line block ×3, first 2 shown]
	v_fma_f64 v[26:27], v[48:49], s[6:7], v[96:97]
	v_fma_f64 v[66:67], v[20:21], s[2:3], v[104:105]
	;; [unrolled: 1-line block ×3, first 2 shown]
	v_fma_f64 v[84:85], v[0:1], 2.0, -v[82:83]
	v_fma_f64 v[2:3], v[72:73], s[6:7], v[2:3]
	v_fma_f64 v[18:19], v[12:13], s[10:11], v[24:25]
	s_mov_b32 s11, 0xbfd87de2
	s_mov_b32 s10, s6
	v_fma_f64 v[22:23], v[78:79], s[10:11], v[10:11]
	v_add_f64 v[108:109], v[28:29], v[92:93]
	v_fma_f64 v[26:27], v[52:53], s[14:15], v[26:27]
	v_mul_f64 v[90:91], v[12:13], s[2:3]
	v_fma_f64 v[12:13], v[6:7], s[2:3], v[66:67]
	v_fma_f64 v[18:19], v[14:15], s[2:3], v[18:19]
	;; [unrolled: 1-line block ×3, first 2 shown]
	v_fma_f64 v[0:1], v[94:95], 2.0, -v[4:5]
	v_fma_f64 v[22:23], v[84:85], s[14:15], v[22:23]
	v_fma_f64 v[16:17], v[16:17], 2.0, -v[2:3]
	v_mul_f64 v[94:95], v[14:15], s[2:3]
	v_mul_f64 v[98:99], v[6:7], s[2:3]
	v_fma_f64 v[6:7], v[104:105], 2.0, -v[12:13]
	v_fma_f64 v[14:15], v[24:25], 2.0, -v[18:19]
	;; [unrolled: 1-line block ×5, first 2 shown]
	v_mul_f64 v[96:97], v[20:21], s[2:3]
	v_fma_f64 v[20:21], v[106:107], 2.0, -v[66:67]
	s_movk_i32 s2, 0xc80
	v_mov_b32_e32 v71, 3
	v_mad_u32_u24 v70, v175, s2, 0
	v_lshlrev_b32_sdwa v71, v71, v176 dst_sel:DWORD dst_unused:UNUSED_PAD src0_sel:DWORD src1_sel:BYTE_0
	v_add3_u32 v104, v70, v71, v123
	ds_write2_b64 v104, v[0:1], v[16:17] offset1:25
	ds_write2_b64 v104, v[14:15], v[10:11] offset0:50 offset1:75
	ds_write2_b64 v104, v[24:25], v[28:29] offset0:100 offset1:125
	ds_write2_b64 v104, v[6:7], v[20:21] offset0:150 offset1:175
	ds_write2_b64 v104, v[4:5], v[2:3] offset0:200 offset1:225
	v_add_u32_e32 v0, 0x400, v104
	ds_write2_b64 v0, v[18:19], v[22:23] offset0:122 offset1:147
	v_add_u32_e32 v0, 0x800, v104
	ds_write2_b64 v0, v[108:109], v[26:27] offset0:44 offset1:69
	ds_write2_b64 v0, v[12:13], v[66:67] offset0:94 offset1:119
	s_waitcnt lgkmcnt(0)
	s_barrier
	ds_read_b64 v[70:71], v122
	ds_read2_b64 v[4:7], v102 offset0:144 offset1:219
	v_add_u32_e32 v102, 0x1400, v117
	ds_read2_b64 v[10:13], v102 offset0:60 offset1:160
	ds_read2_b64 v[0:3], v117 offset0:75 offset1:150
	;; [unrolled: 1-line block ×5, first 2 shown]
	v_add_u32_e32 v100, 0x2000, v117
	ds_read2_b64 v[26:29], v100 offset0:1 offset1:76
	v_cmp_gt_u32_e64 s[2:3], 25, v116
	s_and_saveexec_b64 s[16:17], s[2:3]
	s_cbranch_execz .LBB0_26
; %bb.25:
	ds_read_b64 v[66:67], v117 offset:3000
	ds_read_b64 v[58:59], v117 offset:6200
	;; [unrolled: 1-line block ×3, first 2 shown]
.LBB0_26:
	s_or_b64 exec, exec, s[16:17]
	v_mul_f64 v[8:9], v[8:9], v[32:33]
	v_fma_f64 v[32:33], v[44:45], 2.0, -v[42:43]
	v_fma_f64 v[42:43], v[68:69], 2.0, -v[92:93]
	s_waitcnt lgkmcnt(0)
	s_barrier
	v_add_u32_e32 v92, 0x1000, v117
	v_fma_f64 v[8:9], v[36:37], v[30:31], -v[8:9]
	v_add_f64 v[8:9], v[40:41], -v[8:9]
	v_add_f64 v[30:31], v[8:9], -v[34:35]
	v_fma_f64 v[34:35], v[40:41], 2.0, -v[8:9]
	v_fma_f64 v[40:41], v[46:47], 2.0, -v[56:57]
	;; [unrolled: 1-line block ×3, first 2 shown]
	v_add_f64 v[32:33], v[34:35], -v[32:33]
	v_add_f64 v[36:37], v[30:31], v[88:89]
	v_add_u32_e32 v88, 0x800, v117
	v_add_u32_e32 v89, 0x1800, v117
	v_add_f64 v[44:45], v[8:9], -v[86:87]
	v_add_f64 v[38:39], v[32:33], -v[38:39]
	;; [unrolled: 1-line block ×3, first 2 shown]
	v_fma_f64 v[34:35], v[34:35], 2.0, -v[32:33]
	v_add_u32_e32 v87, 0x800, v104
	v_add_u32_e32 v86, 0x400, v104
	v_add_f64 v[44:45], v[44:45], -v[76:77]
	v_fma_f64 v[32:33], v[32:33], 2.0, -v[38:39]
	v_fma_f64 v[30:31], v[30:31], 2.0, -v[36:37]
	v_add_f64 v[40:41], v[34:35], -v[40:41]
	v_fma_f64 v[56:57], v[82:83], s[14:15], v[36:37]
	v_add_u32_e32 v82, 0x400, v117
	v_fma_f64 v[46:47], v[8:9], 2.0, -v[44:45]
	v_add_f64 v[8:9], v[38:39], v[98:99]
	v_add_f64 v[68:69], v[32:33], -v[94:95]
	v_fma_f64 v[76:77], v[84:85], s[10:11], v[30:31]
	v_fma_f64 v[52:53], v[52:53], s[6:7], v[44:45]
	v_fma_f64 v[34:35], v[34:35], 2.0, -v[40:41]
	v_add_f64 v[50:51], v[40:41], -v[50:51]
	v_fma_f64 v[72:73], v[72:73], s[4:5], v[46:47]
	v_add_f64 v[80:81], v[8:9], -v[96:97]
	v_fma_f64 v[8:9], v[74:75], s[10:11], v[56:57]
	;; [unrolled: 2-line block ×3, first 2 shown]
	v_fma_f64 v[48:49], v[48:49], s[4:5], v[52:53]
	v_add_f64 v[42:43], v[34:35], -v[42:43]
	v_fma_f64 v[40:41], v[40:41], 2.0, -v[50:51]
	v_fma_f64 v[52:53], v[54:55], s[10:11], v[72:73]
	v_fma_f64 v[38:39], v[38:39], 2.0, -v[80:81]
	v_fma_f64 v[36:37], v[36:37], 2.0, -v[8:9]
	;; [unrolled: 1-line block ×7, first 2 shown]
	ds_write2_b64 v87, v[80:81], v[8:9] offset0:94 offset1:119
	ds_write2_b64 v104, v[38:39], v[36:37] offset0:150 offset1:175
	;; [unrolled: 1-line block ×7, first 2 shown]
	ds_write2_b64 v104, v[34:35], v[46:47] offset1:25
	s_waitcnt lgkmcnt(0)
	s_barrier
	ds_read_b64 v[72:73], v122
	ds_read2_b64 v[34:37], v88 offset0:144 offset1:219
	ds_read2_b64 v[38:41], v102 offset0:60 offset1:160
	;; [unrolled: 1-line block ×7, first 2 shown]
	s_and_saveexec_b64 s[4:5], s[2:3]
	s_cbranch_execz .LBB0_28
; %bb.27:
	ds_read_b64 v[8:9], v117 offset:3000
	ds_read_b64 v[62:63], v117 offset:6200
	;; [unrolled: 1-line block ×3, first 2 shown]
.LBB0_28:
	s_or_b64 exec, exec, s[4:5]
	s_and_saveexec_b64 s[4:5], s[0:1]
	s_cbranch_execz .LBB0_31
; %bb.29:
	v_add_u32_e32 v74, 0x12c, v116
	v_lshlrev_b32_e32 v68, 1, v74
	v_mov_b32_e32 v69, 0
	v_lshlrev_b64 v[75:76], 4, v[68:69]
	v_mov_b32_e32 v111, s9
	v_add_co_u32_e32 v68, vcc, s8, v75
	v_addc_co_u32_e32 v75, vcc, v111, v76, vcc
	v_add_co_u32_e32 v83, vcc, 0x18b0, v68
	v_addc_co_u32_e32 v84, vcc, 0, v75, vcc
	;; [unrolled: 2-line block ×3, first 2 shown]
	v_lshlrev_b32_e32 v68, 1, v120
	global_load_dwordx4 v[75:78], v[85:86], off offset:2224
	global_load_dwordx4 v[79:82], v[83:84], off offset:16
	v_lshlrev_b64 v[83:84], 4, v[68:69]
	s_movk_i32 s0, 0x18b0
	v_add_co_u32_e32 v68, vcc, s8, v83
	v_addc_co_u32_e32 v83, vcc, v111, v84, vcc
	v_add_co_u32_e32 v91, vcc, s0, v68
	s_movk_i32 s6, 0x1000
	v_addc_co_u32_e32 v92, vcc, 0, v83, vcc
	v_add_co_u32_e32 v93, vcc, s6, v68
	v_addc_co_u32_e32 v94, vcc, 0, v83, vcc
	global_load_dwordx4 v[83:86], v[93:94], off offset:2224
	global_load_dwordx4 v[87:90], v[91:92], off offset:16
	v_lshlrev_b32_e32 v68, 1, v121
	v_lshlrev_b64 v[91:92], 4, v[68:69]
	s_mov_b32 s5, 0x3febb67a
	v_add_co_u32_e32 v68, vcc, s8, v91
	v_addc_co_u32_e32 v96, vcc, v111, v92, vcc
	v_add_co_u32_e32 v91, vcc, s6, v68
	v_addc_co_u32_e32 v92, vcc, 0, v96, vcc
	;; [unrolled: 2-line block ×3, first 2 shown]
	global_load_dwordx4 v[91:94], v[91:92], off offset:2224
	v_lshlrev_b32_e32 v68, 1, v124
	global_load_dwordx4 v[95:98], v[95:96], off offset:16
	v_lshlrev_b64 v[99:100], 4, v[68:69]
	v_mov_b32_e32 v117, v69
	v_add_co_u32_e32 v68, vcc, s8, v99
	v_addc_co_u32_e32 v99, vcc, v111, v100, vcc
	v_add_co_u32_e32 v107, vcc, s0, v68
	v_addc_co_u32_e32 v108, vcc, 0, v99, vcc
	;; [unrolled: 2-line block ×3, first 2 shown]
	global_load_dwordx4 v[99:102], v[109:110], off offset:2224
	global_load_dwordx4 v[103:106], v[107:108], off offset:16
	v_lshlrev_b32_e32 v68, 1, v116
	v_lshlrev_b64 v[107:108], 4, v[68:69]
	s_mov_b32 s10, 0x51eb851f
	v_add_co_u32_e32 v68, vcc, s8, v107
	v_addc_co_u32_e32 v107, vcc, v111, v108, vcc
	v_add_co_u32_e32 v122, vcc, s0, v68
	v_addc_co_u32_e32 v123, vcc, 0, v107, vcc
	;; [unrolled: 2-line block ×3, first 2 shown]
	global_load_dwordx4 v[107:110], v[124:125], off offset:2224
	global_load_dwordx4 v[111:114], v[122:123], off offset:16
	s_mov_b32 s0, 0xe8584caa
	s_mov_b32 s1, 0xbfebb67a
	;; [unrolled: 1-line block ×3, first 2 shown]
	s_movk_i32 s7, 0x3000
	s_movk_i32 s11, 0x320
	s_waitcnt vmcnt(9)
	v_mul_f64 v[122:123], v[10:11], v[77:78]
	s_waitcnt vmcnt(8)
	v_mul_f64 v[124:125], v[28:29], v[81:82]
	s_waitcnt lgkmcnt(5)
	v_mul_f64 v[77:78], v[38:39], v[77:78]
	s_waitcnt lgkmcnt(0)
	v_mul_f64 v[81:82], v[56:57], v[81:82]
	v_fma_f64 v[38:39], v[38:39], v[75:76], -v[122:123]
	v_fma_f64 v[56:57], v[56:57], v[79:80], -v[124:125]
	v_fma_f64 v[10:11], v[10:11], v[75:76], v[77:78]
	v_fma_f64 v[28:29], v[28:29], v[79:80], v[81:82]
	s_waitcnt vmcnt(7)
	v_mul_f64 v[75:76], v[24:25], v[85:86]
	s_waitcnt vmcnt(6)
	v_mul_f64 v[77:78], v[26:27], v[89:90]
	v_mul_f64 v[79:80], v[52:53], v[85:86]
	v_add_f64 v[81:82], v[38:39], v[56:57]
	v_mul_f64 v[85:86], v[54:55], v[89:90]
	v_add_f64 v[89:90], v[10:11], v[28:29]
	v_fma_f64 v[124:125], v[52:53], v[83:84], -v[75:76]
	v_fma_f64 v[126:127], v[54:55], v[87:88], -v[77:78]
	v_add_f64 v[52:53], v[10:11], -v[28:29]
	v_add_f64 v[54:55], v[48:49], v[38:39]
	v_fma_f64 v[48:49], v[81:82], -0.5, v[48:49]
	v_add_f64 v[38:39], v[38:39], -v[56:57]
	v_fma_f64 v[75:76], v[89:90], -0.5, v[20:21]
	v_fma_f64 v[79:80], v[24:25], v[83:84], v[79:80]
	v_fma_f64 v[83:84], v[26:27], v[87:88], v[85:86]
	s_waitcnt vmcnt(5)
	v_mul_f64 v[122:123], v[22:23], v[93:94]
	v_add_f64 v[24:25], v[124:125], v[126:127]
	s_waitcnt vmcnt(4)
	v_mul_f64 v[81:82], v[16:17], v[97:98]
	v_add_f64 v[10:11], v[20:21], v[10:11]
	v_add_f64 v[26:27], v[54:55], v[56:57]
	v_fma_f64 v[54:55], v[52:53], s[0:1], v[48:49]
	v_fma_f64 v[77:78], v[52:53], s[4:5], v[48:49]
	;; [unrolled: 1-line block ×4, first 2 shown]
	v_fma_f64 v[38:39], v[24:25], -0.5, v[46:47]
	v_add_f64 v[48:49], v[79:80], -v[83:84]
	v_add_f64 v[20:21], v[79:80], v[83:84]
	v_fma_f64 v[56:57], v[50:51], v[91:92], -v[122:123]
	v_fma_f64 v[81:82], v[44:45], v[95:96], -v[81:82]
	v_mul_f64 v[50:51], v[50:51], v[93:94]
	v_mul_f64 v[44:45], v[44:45], v[97:98]
	v_add_f64 v[24:25], v[10:11], v[28:29]
	v_add_f64 v[10:11], v[46:47], v[124:125]
	v_add_f64 v[28:29], v[124:125], -v[126:127]
	v_fma_f64 v[85:86], v[20:21], -0.5, v[18:19]
	v_fma_f64 v[20:21], v[48:49], s[0:1], v[38:39]
	v_add_f64 v[87:88], v[56:57], v[81:82]
	v_fma_f64 v[22:23], v[22:23], v[91:92], v[50:51]
	v_fma_f64 v[89:90], v[16:17], v[95:96], v[44:45]
	;; [unrolled: 1-line block ×3, first 2 shown]
	v_add_f64 v[16:17], v[18:19], v[79:80]
	v_add_f64 v[50:51], v[10:11], v[126:127]
	s_waitcnt vmcnt(3)
	v_mul_f64 v[10:11], v[6:7], v[101:102]
	s_waitcnt vmcnt(2)
	v_mul_f64 v[38:39], v[14:15], v[105:106]
	v_fma_f64 v[18:19], v[28:29], s[4:5], v[85:86]
	v_fma_f64 v[79:80], v[87:88], -0.5, v[32:33]
	v_add_f64 v[87:88], v[22:23], -v[89:90]
	v_fma_f64 v[44:45], v[28:29], s[0:1], v[85:86]
	v_add_f64 v[48:49], v[16:17], v[83:84]
	v_add_f64 v[28:29], v[22:23], v[89:90]
	;; [unrolled: 1-line block ×3, first 2 shown]
	v_fma_f64 v[10:11], v[36:37], v[99:100], -v[10:11]
	v_fma_f64 v[38:39], v[42:43], v[103:104], -v[38:39]
	v_mul_f64 v[83:84], v[36:37], v[101:102]
	v_mul_f64 v[42:43], v[42:43], v[105:106]
	v_fma_f64 v[16:17], v[87:88], s[0:1], v[79:80]
	v_add_f64 v[56:57], v[56:57], -v[81:82]
	v_fma_f64 v[28:29], v[28:29], -0.5, v[2:3]
	v_fma_f64 v[36:37], v[87:88], s[4:5], v[79:80]
	v_add_f64 v[32:33], v[32:33], v[81:82]
	v_add_f64 v[79:80], v[10:11], v[38:39]
	v_fma_f64 v[81:82], v[6:7], v[99:100], v[83:84]
	s_waitcnt vmcnt(1)
	v_mul_f64 v[6:7], v[4:5], v[109:110]
	s_waitcnt vmcnt(0)
	v_mul_f64 v[83:84], v[12:13], v[113:114]
	v_fma_f64 v[42:43], v[14:15], v[103:104], v[42:43]
	v_mul_f64 v[85:86], v[34:35], v[109:110]
	v_mul_f64 v[87:88], v[40:41], v[113:114]
	v_fma_f64 v[14:15], v[56:57], s[4:5], v[28:29]
	v_add_f64 v[2:3], v[2:3], v[22:23]
	v_fma_f64 v[22:23], v[79:80], -0.5, v[30:31]
	v_fma_f64 v[79:80], v[34:35], v[107:108], -v[6:7]
	v_fma_f64 v[83:84], v[40:41], v[111:112], -v[83:84]
	v_add_f64 v[40:41], v[81:82], -v[42:43]
	v_fma_f64 v[34:35], v[56:57], s[0:1], v[28:29]
	v_fma_f64 v[28:29], v[4:5], v[107:108], v[85:86]
	;; [unrolled: 1-line block ×3, first 2 shown]
	v_add_f64 v[4:5], v[81:82], v[42:43]
	v_add_f64 v[85:86], v[30:31], v[10:11]
	;; [unrolled: 1-line block ×4, first 2 shown]
	v_fma_f64 v[6:7], v[40:41], s[0:1], v[22:23]
	v_fma_f64 v[12:13], v[40:41], s[4:5], v[22:23]
	v_add_f64 v[10:11], v[10:11], -v[38:39]
	v_add_f64 v[22:23], v[28:29], v[56:57]
	v_fma_f64 v[87:88], v[4:5], -0.5, v[0:1]
	v_add_f64 v[40:41], v[85:86], v[38:39]
	v_add_f64 v[0:1], v[0:1], v[81:82]
	v_add_f64 v[81:82], v[28:29], -v[56:57]
	v_add_f64 v[85:86], v[72:73], v[79:80]
	v_add_f64 v[28:29], v[70:71], v[28:29]
	v_fma_f64 v[2:3], v[2:3], -0.5, v[72:73]
	v_add_f64 v[79:80], v[79:80], -v[83:84]
	v_fma_f64 v[22:23], v[22:23], -0.5, v[70:71]
	v_fma_f64 v[4:5], v[10:11], s[4:5], v[87:88]
	v_add_f64 v[38:39], v[0:1], v[42:43]
	v_mov_b32_e32 v0, s13
	v_add_f64 v[85:86], v[85:86], v[83:84]
	v_add_f64 v[83:84], v[28:29], v[56:57]
	v_add_co_u32_e32 v28, vcc, s12, v118
	v_fma_f64 v[72:73], v[81:82], s[0:1], v[2:3]
	v_fma_f64 v[81:82], v[81:82], s[4:5], v[2:3]
	;; [unrolled: 1-line block ×4, first 2 shown]
	v_addc_co_u32_e32 v29, vcc, v0, v119, vcc
	v_lshlrev_b64 v[0:1], 4, v[116:117]
	v_fma_f64 v[10:11], v[10:11], s[0:1], v[87:88]
	v_add_co_u32_e32 v0, vcc, v28, v0
	v_addc_co_u32_e32 v1, vcc, v29, v1, vcc
	v_add_co_u32_e32 v2, vcc, s6, v0
	v_mul_hi_u32 v42, v121, s10
	v_addc_co_u32_e32 v3, vcc, 0, v1, vcc
	v_add_co_u32_e32 v22, vcc, s7, v0
	v_addc_co_u32_e32 v23, vcc, 0, v1, vcc
	global_store_dwordx4 v[0:1], v[83:86], off
	global_store_dwordx4 v[2:3], v[79:82], off offset:2304
	global_store_dwordx4 v[22:23], v[70:73], off offset:512
	;; [unrolled: 1-line block ×5, first 2 shown]
	s_movk_i32 s12, 0x2000
	v_lshrrev_b32_e32 v4, 7, v42
	v_mul_u32_u24_e32 v68, 0x320, v4
	v_lshlrev_b64 v[4:5], 4, v[68:69]
	v_add_co_u32_e32 v4, vcc, v0, v4
	v_addc_co_u32_e32 v5, vcc, v1, v5, vcc
	v_add_co_u32_e32 v6, vcc, s12, v4
	v_addc_co_u32_e32 v7, vcc, 0, v5, vcc
	global_store_dwordx4 v[6:7], v[34:37], off offset:608
	v_mul_hi_u32 v6, v120, s10
	global_store_dwordx4 v[4:5], v[30:33], off offset:2400
	v_add_co_u32_e32 v4, vcc, s7, v4
	v_addc_co_u32_e32 v5, vcc, 0, v5, vcc
	global_store_dwordx4 v[4:5], v[14:17], off offset:2912
	v_lshrrev_b32_e32 v4, 7, v6
	v_mul_u32_u24_e32 v68, 0x320, v4
	v_lshlrev_b64 v[4:5], 4, v[68:69]
	s_movk_i32 s7, 0x4000
	v_add_co_u32_e32 v4, vcc, v0, v4
	v_addc_co_u32_e32 v5, vcc, v1, v5, vcc
	v_add_co_u32_e32 v6, vcc, s12, v4
	v_addc_co_u32_e32 v7, vcc, 0, v5, vcc
	global_store_dwordx4 v[6:7], v[44:47], off offset:1808
	v_mul_hi_u32 v6, v74, s10
	global_store_dwordx4 v[4:5], v[48:51], off offset:3600
	v_add_co_u32_e32 v4, vcc, s7, v4
	v_addc_co_u32_e32 v5, vcc, 0, v5, vcc
	global_store_dwordx4 v[4:5], v[18:21], off offset:16
	v_lshrrev_b32_e32 v4, 7, v6
	v_mad_u32_u24 v68, v4, s11, v74
	v_lshlrev_b64 v[4:5], 4, v[68:69]
	v_add_co_u32_e32 v4, vcc, v28, v4
	v_addc_co_u32_e32 v5, vcc, v29, v5, vcc
	v_add_co_u32_e32 v6, vcc, 0x1000, v4
	v_addc_co_u32_e32 v7, vcc, 0, v5, vcc
	global_store_dwordx4 v[4:5], v[24:27], off
	v_add_co_u32_e32 v4, vcc, 0x3000, v4
	v_addc_co_u32_e32 v5, vcc, 0, v5, vcc
	global_store_dwordx4 v[6:7], v[75:78], off offset:2304
	global_store_dwordx4 v[4:5], v[52:55], off offset:512
	s_and_b64 exec, exec, s[2:3]
	s_cbranch_execz .LBB0_31
; %bb.30:
	v_not_b32_e32 v4, 24
	v_mov_b32_e32 v5, 0x177
	v_cndmask_b32_e64 v4, v4, v5, s[2:3]
	v_add_lshl_u32 v68, v116, v4, 1
	v_lshlrev_b64 v[4:5], 4, v[68:69]
	v_mov_b32_e32 v6, s9
	v_add_co_u32_e32 v4, vcc, s8, v4
	v_addc_co_u32_e32 v5, vcc, v6, v5, vcc
	v_add_co_u32_e32 v14, vcc, 0x18b0, v4
	v_addc_co_u32_e32 v15, vcc, 0, v5, vcc
	;; [unrolled: 2-line block ×3, first 2 shown]
	global_load_dwordx4 v[4:7], v[16:17], off offset:2224
	global_load_dwordx4 v[10:13], v[14:15], off offset:16
	v_add_co_u32_e32 v18, vcc, 0x3000, v0
	v_addc_co_u32_e32 v19, vcc, 0, v1, vcc
	v_add_co_u32_e32 v0, vcc, 0x4000, v0
	v_addc_co_u32_e32 v1, vcc, 0, v1, vcc
	s_waitcnt vmcnt(1)
	v_mul_f64 v[14:15], v[62:63], v[6:7]
	s_waitcnt vmcnt(0)
	v_mul_f64 v[16:17], v[64:65], v[12:13]
	v_mul_f64 v[6:7], v[58:59], v[6:7]
	;; [unrolled: 1-line block ×3, first 2 shown]
	v_fma_f64 v[14:15], v[58:59], v[4:5], v[14:15]
	v_fma_f64 v[16:17], v[60:61], v[10:11], v[16:17]
	v_fma_f64 v[4:5], v[62:63], v[4:5], -v[6:7]
	v_fma_f64 v[6:7], v[64:65], v[10:11], -v[12:13]
	v_add_f64 v[20:21], v[66:67], v[14:15]
	v_add_f64 v[10:11], v[14:15], v[16:17]
	;; [unrolled: 1-line block ×4, first 2 shown]
	v_add_f64 v[22:23], v[4:5], -v[6:7]
	v_add_f64 v[14:15], v[14:15], -v[16:17]
	v_add_f64 v[4:5], v[20:21], v[16:17]
	v_fma_f64 v[10:11], v[10:11], -0.5, v[66:67]
	v_add_f64 v[6:7], v[24:25], v[6:7]
	v_fma_f64 v[26:27], v[12:13], -0.5, v[8:9]
	v_fma_f64 v[8:9], v[22:23], s[0:1], v[10:11]
	v_fma_f64 v[12:13], v[22:23], s[4:5], v[10:11]
	;; [unrolled: 1-line block ×4, first 2 shown]
	global_store_dwordx4 v[2:3], v[4:7], off offset:1904
	global_store_dwordx4 v[18:19], v[8:11], off offset:112
	;; [unrolled: 1-line block ×3, first 2 shown]
.LBB0_31:
	s_endpgm
	.section	.rodata,"a",@progbits
	.p2align	6, 0x0
	.amdhsa_kernel fft_rtc_back_len1200_factors_5_5_16_3_wgs_225_tpt_75_halfLds_dp_ip_CI_unitstride_sbrr_dirReg
		.amdhsa_group_segment_fixed_size 0
		.amdhsa_private_segment_fixed_size 0
		.amdhsa_kernarg_size 88
		.amdhsa_user_sgpr_count 6
		.amdhsa_user_sgpr_private_segment_buffer 1
		.amdhsa_user_sgpr_dispatch_ptr 0
		.amdhsa_user_sgpr_queue_ptr 0
		.amdhsa_user_sgpr_kernarg_segment_ptr 1
		.amdhsa_user_sgpr_dispatch_id 0
		.amdhsa_user_sgpr_flat_scratch_init 0
		.amdhsa_user_sgpr_private_segment_size 0
		.amdhsa_uses_dynamic_stack 0
		.amdhsa_system_sgpr_private_segment_wavefront_offset 0
		.amdhsa_system_sgpr_workgroup_id_x 1
		.amdhsa_system_sgpr_workgroup_id_y 0
		.amdhsa_system_sgpr_workgroup_id_z 0
		.amdhsa_system_sgpr_workgroup_info 0
		.amdhsa_system_vgpr_workitem_id 0
		.amdhsa_next_free_vgpr 200
		.amdhsa_next_free_sgpr 22
		.amdhsa_reserve_vcc 1
		.amdhsa_reserve_flat_scratch 0
		.amdhsa_float_round_mode_32 0
		.amdhsa_float_round_mode_16_64 0
		.amdhsa_float_denorm_mode_32 3
		.amdhsa_float_denorm_mode_16_64 3
		.amdhsa_dx10_clamp 1
		.amdhsa_ieee_mode 1
		.amdhsa_fp16_overflow 0
		.amdhsa_exception_fp_ieee_invalid_op 0
		.amdhsa_exception_fp_denorm_src 0
		.amdhsa_exception_fp_ieee_div_zero 0
		.amdhsa_exception_fp_ieee_overflow 0
		.amdhsa_exception_fp_ieee_underflow 0
		.amdhsa_exception_fp_ieee_inexact 0
		.amdhsa_exception_int_div_zero 0
	.end_amdhsa_kernel
	.text
.Lfunc_end0:
	.size	fft_rtc_back_len1200_factors_5_5_16_3_wgs_225_tpt_75_halfLds_dp_ip_CI_unitstride_sbrr_dirReg, .Lfunc_end0-fft_rtc_back_len1200_factors_5_5_16_3_wgs_225_tpt_75_halfLds_dp_ip_CI_unitstride_sbrr_dirReg
                                        ; -- End function
	.section	.AMDGPU.csdata,"",@progbits
; Kernel info:
; codeLenInByte = 11828
; NumSgprs: 26
; NumVgprs: 200
; ScratchSize: 0
; MemoryBound: 1
; FloatMode: 240
; IeeeMode: 1
; LDSByteSize: 0 bytes/workgroup (compile time only)
; SGPRBlocks: 3
; VGPRBlocks: 49
; NumSGPRsForWavesPerEU: 26
; NumVGPRsForWavesPerEU: 200
; Occupancy: 1
; WaveLimiterHint : 1
; COMPUTE_PGM_RSRC2:SCRATCH_EN: 0
; COMPUTE_PGM_RSRC2:USER_SGPR: 6
; COMPUTE_PGM_RSRC2:TRAP_HANDLER: 0
; COMPUTE_PGM_RSRC2:TGID_X_EN: 1
; COMPUTE_PGM_RSRC2:TGID_Y_EN: 0
; COMPUTE_PGM_RSRC2:TGID_Z_EN: 0
; COMPUTE_PGM_RSRC2:TIDIG_COMP_CNT: 0
	.type	__hip_cuid_648c37f6b5f04547,@object ; @__hip_cuid_648c37f6b5f04547
	.section	.bss,"aw",@nobits
	.globl	__hip_cuid_648c37f6b5f04547
__hip_cuid_648c37f6b5f04547:
	.byte	0                               ; 0x0
	.size	__hip_cuid_648c37f6b5f04547, 1

	.ident	"AMD clang version 19.0.0git (https://github.com/RadeonOpenCompute/llvm-project roc-6.4.0 25133 c7fe45cf4b819c5991fe208aaa96edf142730f1d)"
	.section	".note.GNU-stack","",@progbits
	.addrsig
	.addrsig_sym __hip_cuid_648c37f6b5f04547
	.amdgpu_metadata
---
amdhsa.kernels:
  - .args:
      - .actual_access:  read_only
        .address_space:  global
        .offset:         0
        .size:           8
        .value_kind:     global_buffer
      - .offset:         8
        .size:           8
        .value_kind:     by_value
      - .actual_access:  read_only
        .address_space:  global
        .offset:         16
        .size:           8
        .value_kind:     global_buffer
      - .actual_access:  read_only
        .address_space:  global
        .offset:         24
        .size:           8
        .value_kind:     global_buffer
      - .offset:         32
        .size:           8
        .value_kind:     by_value
      - .actual_access:  read_only
        .address_space:  global
        .offset:         40
        .size:           8
        .value_kind:     global_buffer
      - .actual_access:  read_only
        .address_space:  global
        .offset:         48
        .size:           8
        .value_kind:     global_buffer
      - .offset:         56
        .size:           4
        .value_kind:     by_value
      - .actual_access:  read_only
        .address_space:  global
        .offset:         64
        .size:           8
        .value_kind:     global_buffer
      - .actual_access:  read_only
        .address_space:  global
        .offset:         72
        .size:           8
        .value_kind:     global_buffer
      - .address_space:  global
        .offset:         80
        .size:           8
        .value_kind:     global_buffer
    .group_segment_fixed_size: 0
    .kernarg_segment_align: 8
    .kernarg_segment_size: 88
    .language:       OpenCL C
    .language_version:
      - 2
      - 0
    .max_flat_workgroup_size: 225
    .name:           fft_rtc_back_len1200_factors_5_5_16_3_wgs_225_tpt_75_halfLds_dp_ip_CI_unitstride_sbrr_dirReg
    .private_segment_fixed_size: 0
    .sgpr_count:     26
    .sgpr_spill_count: 0
    .symbol:         fft_rtc_back_len1200_factors_5_5_16_3_wgs_225_tpt_75_halfLds_dp_ip_CI_unitstride_sbrr_dirReg.kd
    .uniform_work_group_size: 1
    .uses_dynamic_stack: false
    .vgpr_count:     200
    .vgpr_spill_count: 0
    .wavefront_size: 64
amdhsa.target:   amdgcn-amd-amdhsa--gfx906
amdhsa.version:
  - 1
  - 2
...

	.end_amdgpu_metadata
